;; amdgpu-corpus repo=ROCm/rocFFT kind=compiled arch=gfx1201 opt=O3
	.text
	.amdgcn_target "amdgcn-amd-amdhsa--gfx1201"
	.amdhsa_code_object_version 6
	.protected	fft_rtc_fwd_len1156_factors_17_2_17_2_wgs_204_tpt_68_halfLds_dp_ip_CI_unitstride_sbrr_dirReg ; -- Begin function fft_rtc_fwd_len1156_factors_17_2_17_2_wgs_204_tpt_68_halfLds_dp_ip_CI_unitstride_sbrr_dirReg
	.globl	fft_rtc_fwd_len1156_factors_17_2_17_2_wgs_204_tpt_68_halfLds_dp_ip_CI_unitstride_sbrr_dirReg
	.p2align	8
	.type	fft_rtc_fwd_len1156_factors_17_2_17_2_wgs_204_tpt_68_halfLds_dp_ip_CI_unitstride_sbrr_dirReg,@function
fft_rtc_fwd_len1156_factors_17_2_17_2_wgs_204_tpt_68_halfLds_dp_ip_CI_unitstride_sbrr_dirReg: ; @fft_rtc_fwd_len1156_factors_17_2_17_2_wgs_204_tpt_68_halfLds_dp_ip_CI_unitstride_sbrr_dirReg
; %bb.0:
	s_load_b128 s[4:7], s[0:1], 0x0
	v_mul_u32_u24_e32 v1, 0x3c4, v0
	s_clause 0x1
	s_load_b64 s[8:9], s[0:1], 0x50
	s_load_b64 s[10:11], s[0:1], 0x18
	v_mov_b32_e32 v3, 0
	v_lshrrev_b32_e32 v1, 16, v1
	s_delay_alu instid0(VALU_DEP_1) | instskip(SKIP_1) | instid1(VALU_DEP_4)
	v_mad_co_u64_u32 v[68:69], null, ttmp9, 3, v[1:2]
	v_mov_b32_e32 v1, 0
	v_dual_mov_b32 v2, 0 :: v_dual_mov_b32 v69, v3
	s_delay_alu instid0(VALU_DEP_1) | instskip(SKIP_2) | instid1(VALU_DEP_1)
	v_dual_mov_b32 v7, v68 :: v_dual_mov_b32 v8, v69
	s_wait_kmcnt 0x0
	v_cmp_lt_u64_e64 s2, s[6:7], 2
	s_and_b32 vcc_lo, exec_lo, s2
	s_cbranch_vccnz .LBB0_8
; %bb.1:
	s_load_b64 s[2:3], s[0:1], 0x10
	v_mov_b32_e32 v1, 0
	v_dual_mov_b32 v2, 0 :: v_dual_mov_b32 v5, v68
	v_mov_b32_e32 v6, v69
	s_add_nc_u64 s[12:13], s[10:11], 8
	s_mov_b64 s[14:15], 1
	s_wait_kmcnt 0x0
	s_add_nc_u64 s[16:17], s[2:3], 8
	s_mov_b32 s3, 0
.LBB0_2:                                ; =>This Inner Loop Header: Depth=1
	s_load_b64 s[18:19], s[16:17], 0x0
                                        ; implicit-def: $vgpr7_vgpr8
	s_mov_b32 s2, exec_lo
	s_wait_kmcnt 0x0
	v_or_b32_e32 v4, s19, v6
	s_delay_alu instid0(VALU_DEP_1)
	v_cmpx_ne_u64_e32 0, v[3:4]
	s_wait_alu 0xfffe
	s_xor_b32 s20, exec_lo, s2
	s_cbranch_execz .LBB0_4
; %bb.3:                                ;   in Loop: Header=BB0_2 Depth=1
	s_cvt_f32_u32 s2, s18
	s_cvt_f32_u32 s21, s19
	s_sub_nc_u64 s[24:25], 0, s[18:19]
	s_wait_alu 0xfffe
	s_delay_alu instid0(SALU_CYCLE_1) | instskip(SKIP_1) | instid1(SALU_CYCLE_2)
	s_fmamk_f32 s2, s21, 0x4f800000, s2
	s_wait_alu 0xfffe
	v_s_rcp_f32 s2, s2
	s_delay_alu instid0(TRANS32_DEP_1) | instskip(SKIP_1) | instid1(SALU_CYCLE_2)
	s_mul_f32 s2, s2, 0x5f7ffffc
	s_wait_alu 0xfffe
	s_mul_f32 s21, s2, 0x2f800000
	s_wait_alu 0xfffe
	s_delay_alu instid0(SALU_CYCLE_2) | instskip(SKIP_1) | instid1(SALU_CYCLE_2)
	s_trunc_f32 s21, s21
	s_wait_alu 0xfffe
	s_fmamk_f32 s2, s21, 0xcf800000, s2
	s_cvt_u32_f32 s23, s21
	s_wait_alu 0xfffe
	s_delay_alu instid0(SALU_CYCLE_1) | instskip(SKIP_1) | instid1(SALU_CYCLE_2)
	s_cvt_u32_f32 s22, s2
	s_wait_alu 0xfffe
	s_mul_u64 s[26:27], s[24:25], s[22:23]
	s_wait_alu 0xfffe
	s_mul_hi_u32 s29, s22, s27
	s_mul_i32 s28, s22, s27
	s_mul_hi_u32 s2, s22, s26
	s_mul_i32 s30, s23, s26
	s_wait_alu 0xfffe
	s_add_nc_u64 s[28:29], s[2:3], s[28:29]
	s_mul_hi_u32 s21, s23, s26
	s_mul_hi_u32 s31, s23, s27
	s_add_co_u32 s2, s28, s30
	s_wait_alu 0xfffe
	s_add_co_ci_u32 s2, s29, s21
	s_mul_i32 s26, s23, s27
	s_add_co_ci_u32 s27, s31, 0
	s_wait_alu 0xfffe
	s_add_nc_u64 s[26:27], s[2:3], s[26:27]
	s_wait_alu 0xfffe
	v_add_co_u32 v4, s2, s22, s26
	s_delay_alu instid0(VALU_DEP_1) | instskip(SKIP_1) | instid1(VALU_DEP_1)
	s_cmp_lg_u32 s2, 0
	s_add_co_ci_u32 s23, s23, s27
	v_readfirstlane_b32 s22, v4
	s_wait_alu 0xfffe
	s_delay_alu instid0(VALU_DEP_1)
	s_mul_u64 s[24:25], s[24:25], s[22:23]
	s_wait_alu 0xfffe
	s_mul_hi_u32 s27, s22, s25
	s_mul_i32 s26, s22, s25
	s_mul_hi_u32 s2, s22, s24
	s_mul_i32 s28, s23, s24
	s_wait_alu 0xfffe
	s_add_nc_u64 s[26:27], s[2:3], s[26:27]
	s_mul_hi_u32 s21, s23, s24
	s_mul_hi_u32 s22, s23, s25
	s_wait_alu 0xfffe
	s_add_co_u32 s2, s26, s28
	s_add_co_ci_u32 s2, s27, s21
	s_mul_i32 s24, s23, s25
	s_add_co_ci_u32 s25, s22, 0
	s_wait_alu 0xfffe
	s_add_nc_u64 s[24:25], s[2:3], s[24:25]
	s_wait_alu 0xfffe
	v_add_co_u32 v4, s2, v4, s24
	s_delay_alu instid0(VALU_DEP_1) | instskip(SKIP_1) | instid1(VALU_DEP_1)
	s_cmp_lg_u32 s2, 0
	s_add_co_ci_u32 s2, s23, s25
	v_mul_hi_u32 v13, v5, v4
	s_wait_alu 0xfffe
	v_mad_co_u64_u32 v[7:8], null, v5, s2, 0
	v_mad_co_u64_u32 v[9:10], null, v6, v4, 0
	;; [unrolled: 1-line block ×3, first 2 shown]
	s_delay_alu instid0(VALU_DEP_3) | instskip(SKIP_1) | instid1(VALU_DEP_4)
	v_add_co_u32 v4, vcc_lo, v13, v7
	s_wait_alu 0xfffd
	v_add_co_ci_u32_e32 v7, vcc_lo, 0, v8, vcc_lo
	s_delay_alu instid0(VALU_DEP_2) | instskip(SKIP_1) | instid1(VALU_DEP_2)
	v_add_co_u32 v4, vcc_lo, v4, v9
	s_wait_alu 0xfffd
	v_add_co_ci_u32_e32 v4, vcc_lo, v7, v10, vcc_lo
	s_wait_alu 0xfffd
	v_add_co_ci_u32_e32 v7, vcc_lo, 0, v12, vcc_lo
	s_delay_alu instid0(VALU_DEP_2) | instskip(SKIP_1) | instid1(VALU_DEP_2)
	v_add_co_u32 v4, vcc_lo, v4, v11
	s_wait_alu 0xfffd
	v_add_co_ci_u32_e32 v9, vcc_lo, 0, v7, vcc_lo
	s_delay_alu instid0(VALU_DEP_2) | instskip(SKIP_1) | instid1(VALU_DEP_3)
	v_mul_lo_u32 v10, s19, v4
	v_mad_co_u64_u32 v[7:8], null, s18, v4, 0
	v_mul_lo_u32 v11, s18, v9
	s_delay_alu instid0(VALU_DEP_2) | instskip(NEXT) | instid1(VALU_DEP_2)
	v_sub_co_u32 v7, vcc_lo, v5, v7
	v_add3_u32 v8, v8, v11, v10
	s_delay_alu instid0(VALU_DEP_1) | instskip(SKIP_1) | instid1(VALU_DEP_1)
	v_sub_nc_u32_e32 v10, v6, v8
	s_wait_alu 0xfffd
	v_subrev_co_ci_u32_e64 v10, s2, s19, v10, vcc_lo
	v_add_co_u32 v11, s2, v4, 2
	s_wait_alu 0xf1ff
	v_add_co_ci_u32_e64 v12, s2, 0, v9, s2
	v_sub_co_u32 v13, s2, v7, s18
	v_sub_co_ci_u32_e32 v8, vcc_lo, v6, v8, vcc_lo
	s_wait_alu 0xf1ff
	v_subrev_co_ci_u32_e64 v10, s2, 0, v10, s2
	s_delay_alu instid0(VALU_DEP_3) | instskip(NEXT) | instid1(VALU_DEP_3)
	v_cmp_le_u32_e32 vcc_lo, s18, v13
	v_cmp_eq_u32_e64 s2, s19, v8
	s_wait_alu 0xfffd
	v_cndmask_b32_e64 v13, 0, -1, vcc_lo
	v_cmp_le_u32_e32 vcc_lo, s19, v10
	s_wait_alu 0xfffd
	v_cndmask_b32_e64 v14, 0, -1, vcc_lo
	v_cmp_le_u32_e32 vcc_lo, s18, v7
	;; [unrolled: 3-line block ×3, first 2 shown]
	s_wait_alu 0xfffd
	v_cndmask_b32_e64 v15, 0, -1, vcc_lo
	v_cmp_eq_u32_e32 vcc_lo, s19, v10
	s_wait_alu 0xf1ff
	s_delay_alu instid0(VALU_DEP_2)
	v_cndmask_b32_e64 v7, v15, v7, s2
	s_wait_alu 0xfffd
	v_cndmask_b32_e32 v10, v14, v13, vcc_lo
	v_add_co_u32 v13, vcc_lo, v4, 1
	s_wait_alu 0xfffd
	v_add_co_ci_u32_e32 v14, vcc_lo, 0, v9, vcc_lo
	s_delay_alu instid0(VALU_DEP_3) | instskip(SKIP_2) | instid1(VALU_DEP_3)
	v_cmp_ne_u32_e32 vcc_lo, 0, v10
	s_wait_alu 0xfffd
	v_cndmask_b32_e32 v10, v13, v11, vcc_lo
	v_cndmask_b32_e32 v8, v14, v12, vcc_lo
	v_cmp_ne_u32_e32 vcc_lo, 0, v7
	s_wait_alu 0xfffd
	s_delay_alu instid0(VALU_DEP_2)
	v_dual_cndmask_b32 v7, v4, v10 :: v_dual_cndmask_b32 v8, v9, v8
.LBB0_4:                                ;   in Loop: Header=BB0_2 Depth=1
	s_wait_alu 0xfffe
	s_and_not1_saveexec_b32 s2, s20
	s_cbranch_execz .LBB0_6
; %bb.5:                                ;   in Loop: Header=BB0_2 Depth=1
	v_cvt_f32_u32_e32 v4, s18
	s_sub_co_i32 s20, 0, s18
	s_delay_alu instid0(VALU_DEP_1) | instskip(NEXT) | instid1(TRANS32_DEP_1)
	v_rcp_iflag_f32_e32 v4, v4
	v_mul_f32_e32 v4, 0x4f7ffffe, v4
	s_delay_alu instid0(VALU_DEP_1) | instskip(SKIP_1) | instid1(VALU_DEP_1)
	v_cvt_u32_f32_e32 v4, v4
	s_wait_alu 0xfffe
	v_mul_lo_u32 v7, s20, v4
	s_delay_alu instid0(VALU_DEP_1) | instskip(NEXT) | instid1(VALU_DEP_1)
	v_mul_hi_u32 v7, v4, v7
	v_add_nc_u32_e32 v4, v4, v7
	s_delay_alu instid0(VALU_DEP_1) | instskip(NEXT) | instid1(VALU_DEP_1)
	v_mul_hi_u32 v4, v5, v4
	v_mul_lo_u32 v7, v4, s18
	v_add_nc_u32_e32 v8, 1, v4
	s_delay_alu instid0(VALU_DEP_2) | instskip(NEXT) | instid1(VALU_DEP_1)
	v_sub_nc_u32_e32 v7, v5, v7
	v_subrev_nc_u32_e32 v9, s18, v7
	v_cmp_le_u32_e32 vcc_lo, s18, v7
	s_wait_alu 0xfffd
	s_delay_alu instid0(VALU_DEP_2) | instskip(NEXT) | instid1(VALU_DEP_1)
	v_dual_cndmask_b32 v7, v7, v9 :: v_dual_cndmask_b32 v4, v4, v8
	v_cmp_le_u32_e32 vcc_lo, s18, v7
	s_delay_alu instid0(VALU_DEP_2) | instskip(SKIP_1) | instid1(VALU_DEP_1)
	v_add_nc_u32_e32 v8, 1, v4
	s_wait_alu 0xfffd
	v_dual_cndmask_b32 v7, v4, v8 :: v_dual_mov_b32 v8, v3
.LBB0_6:                                ;   in Loop: Header=BB0_2 Depth=1
	s_wait_alu 0xfffe
	s_or_b32 exec_lo, exec_lo, s2
	s_load_b64 s[20:21], s[12:13], 0x0
	s_delay_alu instid0(VALU_DEP_1)
	v_mul_lo_u32 v4, v8, s18
	v_mul_lo_u32 v11, v7, s19
	v_mad_co_u64_u32 v[9:10], null, v7, s18, 0
	s_add_nc_u64 s[14:15], s[14:15], 1
	s_add_nc_u64 s[12:13], s[12:13], 8
	s_wait_alu 0xfffe
	v_cmp_ge_u64_e64 s2, s[14:15], s[6:7]
	s_add_nc_u64 s[16:17], s[16:17], 8
	s_delay_alu instid0(VALU_DEP_2) | instskip(NEXT) | instid1(VALU_DEP_3)
	v_add3_u32 v4, v10, v11, v4
	v_sub_co_u32 v5, vcc_lo, v5, v9
	s_wait_alu 0xfffd
	s_delay_alu instid0(VALU_DEP_2) | instskip(SKIP_3) | instid1(VALU_DEP_2)
	v_sub_co_ci_u32_e32 v4, vcc_lo, v6, v4, vcc_lo
	s_and_b32 vcc_lo, exec_lo, s2
	s_wait_kmcnt 0x0
	v_mul_lo_u32 v6, s21, v5
	v_mul_lo_u32 v4, s20, v4
	v_mad_co_u64_u32 v[1:2], null, s20, v5, v[1:2]
	s_delay_alu instid0(VALU_DEP_1)
	v_add3_u32 v2, v6, v2, v4
	s_wait_alu 0xfffe
	s_cbranch_vccnz .LBB0_8
; %bb.7:                                ;   in Loop: Header=BB0_2 Depth=1
	v_dual_mov_b32 v5, v7 :: v_dual_mov_b32 v6, v8
	s_branch .LBB0_2
.LBB0_8:
	s_lshl_b64 s[2:3], s[6:7], 3
	v_mul_hi_u32 v5, 0x3c3c3c4, v0
	s_wait_alu 0xfffe
	s_add_nc_u64 s[2:3], s[10:11], s[2:3]
                                        ; implicit-def: $vgpr10_vgpr11
                                        ; implicit-def: $vgpr14_vgpr15
                                        ; implicit-def: $vgpr18_vgpr19
                                        ; implicit-def: $vgpr26_vgpr27
                                        ; implicit-def: $vgpr30_vgpr31
                                        ; implicit-def: $vgpr34_vgpr35
                                        ; implicit-def: $vgpr38_vgpr39
                                        ; implicit-def: $vgpr42_vgpr43
                                        ; implicit-def: $vgpr46_vgpr47
                                        ; implicit-def: $vgpr50_vgpr51
                                        ; implicit-def: $vgpr66_vgpr67
                                        ; implicit-def: $vgpr62_vgpr63
                                        ; implicit-def: $vgpr58_vgpr59
                                        ; implicit-def: $vgpr54_vgpr55
                                        ; implicit-def: $vgpr22_vgpr23
	s_load_b64 s[2:3], s[2:3], 0x0
	s_load_b64 s[0:1], s[0:1], 0x20
	s_wait_kmcnt 0x0
	v_mul_lo_u32 v3, s2, v8
	v_mul_lo_u32 v4, s3, v7
	v_mad_co_u64_u32 v[1:2], null, s2, v7, v[1:2]
	v_cmp_gt_u64_e32 vcc_lo, s[0:1], v[7:8]
                                        ; implicit-def: $vgpr6_vgpr7
	s_delay_alu instid0(VALU_DEP_2) | instskip(SKIP_1) | instid1(VALU_DEP_2)
	v_add3_u32 v2, v4, v2, v3
	v_mul_u32_u24_e32 v3, 0x44, v5
	v_lshlrev_b64_e32 v[98:99], 4, v[1:2]
	s_delay_alu instid0(VALU_DEP_2)
	v_sub_nc_u32_e32 v96, v0, v3
                                        ; implicit-def: $vgpr2_vgpr3
	s_and_saveexec_b32 s1, vcc_lo
; %bb.9:
	v_mov_b32_e32 v97, 0
	s_delay_alu instid0(VALU_DEP_3) | instskip(SKIP_2) | instid1(VALU_DEP_3)
	v_add_co_u32 v2, s0, s8, v98
	s_wait_alu 0xf1ff
	v_add_co_ci_u32_e64 v3, s0, s9, v99, s0
	v_lshlrev_b64_e32 v[0:1], 4, v[96:97]
	s_delay_alu instid0(VALU_DEP_1) | instskip(SKIP_1) | instid1(VALU_DEP_2)
	v_add_co_u32 v0, s0, v2, v0
	s_wait_alu 0xf1ff
	v_add_co_ci_u32_e64 v1, s0, v3, v1, s0
	s_clause 0x10
	global_load_b128 v[20:23], v[0:1], off
	global_load_b128 v[52:55], v[0:1], off offset:1088
	global_load_b128 v[56:59], v[0:1], off offset:2176
	;; [unrolled: 1-line block ×16, first 2 shown]
; %bb.10:
	s_wait_alu 0xfffe
	s_or_b32 exec_lo, exec_lo, s1
	s_wait_loadcnt 0xf
	v_add_f64_e32 v[69:70], v[52:53], v[20:21]
	s_wait_loadcnt 0x0
	v_add_f64_e32 v[71:72], v[0:1], v[52:53]
	s_mov_b32 s2, 0x3259b75e
	s_mov_b32 s6, 0xc61f0d01
	;; [unrolled: 1-line block ×9, first 2 shown]
	v_add_f64_e64 v[73:74], v[54:55], -v[2:3]
	v_add_f64_e32 v[75:76], v[4:5], v[56:57]
	s_mov_b32 s11, 0xbfef7484
	s_mov_b32 s12, 0x2b2883cd
	;; [unrolled: 1-line block ×16, first 2 shown]
	v_add_f64_e64 v[77:78], v[58:59], -v[6:7]
	s_mov_b32 s55, 0x3fc7851a
	v_add_f64_e32 v[79:80], v[8:9], v[60:61]
	s_mov_b32 s29, 0xbfe9895b
	s_mov_b32 s39, 0xbfc7851a
	;; [unrolled: 1-line block ×6, first 2 shown]
	v_add_f64_e32 v[69:70], v[56:57], v[69:70]
	s_wait_alu 0xfffe
	v_mul_f64_e32 v[108:109], s[2:3], v[71:72]
	v_mul_f64_e32 v[110:111], s[6:7], v[71:72]
	;; [unrolled: 1-line block ×8, first 2 shown]
	s_mov_b32 s25, 0xbfeec746
	s_mov_b32 s26, 0x7c9e640b
	;; [unrolled: 1-line block ×3, first 2 shown]
	v_mul_f64_e32 v[120:121], s[10:11], v[75:76]
	v_mul_f64_e32 v[124:125], s[16:17], v[75:76]
	;; [unrolled: 1-line block ×8, first 2 shown]
	s_mov_b32 s36, 0x5d8e7cdc
	s_mov_b32 s45, 0xbfefdd0d
	s_mov_b32 s24, s48
	s_mov_b32 s44, s22
	s_mov_b32 s27, 0x3feca52d
	s_mov_b32 s51, 0xbfeca52d
	s_mov_b32 s31, 0x3fe58eea
	s_mov_b32 s47, 0xbfe58eea
	s_mov_b32 s37, 0x3fd71e95
	s_wait_alu 0xfffe
	s_mov_b32 s50, s26
	s_mov_b32 s46, s30
	;; [unrolled: 1-line block ×4, first 2 shown]
	v_add_f64_e64 v[81:82], v[62:63], -v[10:11]
	v_add_f64_e32 v[83:84], v[12:13], v[64:65]
	v_mul_f64_e32 v[130:131], s[6:7], v[79:80]
	v_mul_f64_e32 v[132:133], s[18:19], v[79:80]
	;; [unrolled: 1-line block ×3, first 2 shown]
	v_add_f64_e32 v[69:70], v[60:61], v[69:70]
	v_fma_f64 v[172:173], v[73:74], s[22:23], v[108:109]
	v_fma_f64 v[174:175], v[73:74], s[48:49], v[110:111]
	;; [unrolled: 1-line block ×16, first 2 shown]
	v_mul_f64_e32 v[136:137], s[2:3], v[79:80]
	v_mul_f64_e32 v[188:189], s[16:17], v[79:80]
	;; [unrolled: 1-line block ×5, first 2 shown]
	v_fma_f64 v[194:195], v[77:78], s[54:55], v[120:121]
	v_fma_f64 v[196:197], v[77:78], s[34:35], v[124:125]
	;; [unrolled: 1-line block ×16, first 2 shown]
	v_add_f64_e32 v[69:70], v[64:65], v[69:70]
	v_add_f64_e32 v[124:125], v[20:21], v[172:173]
	;; [unrolled: 1-line block ×17, first 2 shown]
	v_add_f64_e64 v[85:86], v[66:67], -v[14:15]
	v_add_f64_e32 v[87:88], v[16:17], v[48:49]
	v_mul_f64_e32 v[138:139], s[20:21], v[83:84]
	v_mul_f64_e32 v[140:141], s[12:13], v[83:84]
	v_fma_f64 v[214:215], v[81:82], s[24:25], v[130:131]
	v_fma_f64 v[216:217], v[81:82], s[46:47], v[132:133]
	;; [unrolled: 1-line block ×16, first 2 shown]
	v_mul_f64_e32 v[142:143], s[16:17], v[83:84]
	v_add_f64_e32 v[69:70], v[48:49], v[69:70]
	v_add_f64_e32 v[124:125], v[194:195], v[124:125]
	;; [unrolled: 1-line block ×3, first 2 shown]
	v_mul_f64_e32 v[144:145], s[14:15], v[83:84]
	v_mul_f64_e32 v[186:187], s[18:19], v[83:84]
	;; [unrolled: 1-line block ×5, first 2 shown]
	v_add_f64_e32 v[172:173], v[198:199], v[174:175]
	v_add_f64_e32 v[174:175], v[200:201], v[176:177]
	;; [unrolled: 1-line block ×14, first 2 shown]
	v_add_f64_e64 v[89:90], v[50:51], -v[18:19]
	v_add_f64_e32 v[91:92], v[24:25], v[44:45]
	v_mul_f64_e32 v[146:147], s[12:13], v[87:88]
	v_mul_f64_e32 v[148:149], s[10:11], v[87:88]
	v_fma_f64 v[176:177], v[85:86], s[42:43], v[138:139]
	v_fma_f64 v[178:179], v[85:86], s[26:27], v[140:141]
	v_mul_f64_e32 v[150:151], s[2:3], v[87:88]
	v_mul_f64_e32 v[152:153], s[20:21], v[87:88]
	;; [unrolled: 1-line block ×6, first 2 shown]
	v_fma_f64 v[138:139], v[85:86], s[36:37], v[138:139]
	v_add_f64_e64 v[93:94], v[46:47], -v[26:27]
	v_add_f64_e32 v[100:101], v[28:29], v[40:41]
	v_fma_f64 v[180:181], v[85:86], s[52:53], v[142:143]
	v_add_f64_e32 v[69:70], v[44:45], v[69:70]
	v_add_f64_e32 v[124:125], v[214:215], v[124:125]
	;; [unrolled: 1-line block ×3, first 2 shown]
	v_fma_f64 v[182:183], v[85:86], s[28:29], v[144:145]
	v_fma_f64 v[142:143], v[85:86], s[34:35], v[142:143]
	;; [unrolled: 1-line block ×12, first 2 shown]
	v_add_f64_e32 v[140:141], v[218:219], v[172:173]
	v_add_f64_e32 v[172:173], v[220:221], v[174:175]
	;; [unrolled: 1-line block ×14, first 2 shown]
	v_mul_f64_e32 v[156:157], s[16:17], v[91:92]
	v_mul_f64_e32 v[160:161], s[2:3], v[91:92]
	v_fma_f64 v[154:155], v[89:90], s[26:27], v[146:147]
	v_fma_f64 v[174:175], v[89:90], s[54:55], v[148:149]
	v_mul_f64_e32 v[164:165], s[18:19], v[91:92]
	v_mul_f64_e32 v[166:167], s[10:11], v[91:92]
	v_fma_f64 v[188:189], v[89:90], s[44:45], v[150:151]
	v_fma_f64 v[190:191], v[89:90], s[36:37], v[152:153]
	;; [unrolled: 1-line block ×3, first 2 shown]
	v_add_f64_e32 v[69:70], v[40:41], v[69:70]
	v_add_f64_e32 v[124:125], v[176:177], v[124:125]
	;; [unrolled: 1-line block ×3, first 2 shown]
	v_fma_f64 v[152:153], v[89:90], s[42:43], v[152:153]
	v_fma_f64 v[192:193], v[89:90], s[40:41], v[122:123]
	;; [unrolled: 1-line block ×11, first 2 shown]
	v_mul_f64_e32 v[110:111], s[12:13], v[91:92]
	v_add_f64_e32 v[140:141], v[180:181], v[140:141]
	v_add_f64_e32 v[148:149], v[182:183], v[172:173]
	;; [unrolled: 1-line block ×6, first 2 shown]
	v_mul_f64_e32 v[130:131], s[14:15], v[91:92]
	v_mul_f64_e32 v[136:137], s[6:7], v[91:92]
	;; [unrolled: 1-line block ×3, first 2 shown]
	v_add_f64_e32 v[108:109], v[138:139], v[108:109]
	v_add_f64_e32 v[77:78], v[85:86], v[77:78]
	;; [unrolled: 1-line block ×8, first 2 shown]
	v_add_f64_e64 v[102:103], v[42:43], -v[30:31]
	v_add_f64_e32 v[104:105], v[32:33], v[36:37]
	v_mul_f64_e32 v[168:169], s[14:15], v[100:101]
	v_mul_f64_e32 v[170:171], s[20:21], v[100:101]
	v_fma_f64 v[144:145], v[93:94], s[52:53], v[156:157]
	v_fma_f64 v[172:173], v[93:94], s[44:45], v[160:161]
	v_add_f64_e32 v[69:70], v[36:37], v[69:70]
	v_add_f64_e32 v[124:125], v[154:155], v[124:125]
	;; [unrolled: 1-line block ×3, first 2 shown]
	v_mul_f64_e32 v[73:74], s[10:11], v[100:101]
	v_mul_f64_e32 v[71:72], s[18:19], v[100:101]
	v_fma_f64 v[176:177], v[93:94], s[30:31], v[164:165]
	v_fma_f64 v[178:179], v[93:94], s[54:55], v[166:167]
	v_mul_f64_e32 v[85:86], s[6:7], v[100:101]
	v_fma_f64 v[164:165], v[93:94], s[46:47], v[164:165]
	v_fma_f64 v[166:167], v[93:94], s[38:39], v[166:167]
	v_mul_f64_e32 v[138:139], s[16:17], v[100:101]
	v_mul_f64_e32 v[142:143], s[12:13], v[100:101]
	;; [unrolled: 1-line block ×3, first 2 shown]
	v_fma_f64 v[156:157], v[93:94], s[34:35], v[156:157]
	v_fma_f64 v[180:181], v[93:94], s[50:51], v[110:111]
	v_add_f64_e32 v[140:141], v[188:189], v[140:141]
	v_add_f64_e32 v[148:149], v[190:191], v[148:149]
	v_fma_f64 v[110:111], v[93:94], s[26:27], v[110:111]
	v_add_f64_e32 v[112:113], v[150:151], v[112:113]
	v_add_f64_e32 v[126:127], v[192:193], v[126:127]
	v_add_f64_e32 v[116:117], v[122:123], v[116:117]
	v_add_f64_e32 v[114:115], v[152:153], v[114:115]
	v_fma_f64 v[182:183], v[93:94], s[40:41], v[130:131]
	v_fma_f64 v[130:131], v[93:94], s[28:29], v[130:131]
	;; [unrolled: 1-line block ×7, first 2 shown]
	v_add_f64_e32 v[108:109], v[146:147], v[108:109]
	v_add_f64_e32 v[77:78], v[89:90], v[77:78]
	v_add_f64_e32 v[122:123], v[204:205], v[128:129]
	v_add_f64_e32 v[128:129], v[162:163], v[134:135]
	v_add_f64_e32 v[75:76], v[87:88], v[75:76]
	v_add_f64_e32 v[118:119], v[158:159], v[118:119]
	v_add_f64_e32 v[79:80], v[206:207], v[79:80]
	v_add_f64_e32 v[20:21], v[208:209], v[20:21]
	v_add_f64_e64 v[106:107], v[38:39], -v[34:35]
	v_add_f64_e32 v[69:70], v[32:33], v[69:70]
	v_mul_f64_e32 v[120:121], s[18:19], v[104:105]
	v_mul_f64_e32 v[81:82], s[14:15], v[104:105]
	;; [unrolled: 1-line block ×8, first 2 shown]
	v_fma_f64 v[150:151], v[102:103], s[28:29], v[168:169]
	v_fma_f64 v[152:153], v[102:103], s[36:37], v[170:171]
	v_add_f64_e32 v[124:125], v[144:145], v[124:125]
	v_add_f64_e32 v[132:133], v[172:173], v[132:133]
	v_fma_f64 v[154:155], v[102:103], s[54:55], v[73:74]
	v_fma_f64 v[158:159], v[102:103], s[46:47], v[71:72]
	v_add_f64_e32 v[140:141], v[176:177], v[140:141]
	v_add_f64_e32 v[144:145], v[178:179], v[148:149]
	v_fma_f64 v[73:74], v[102:103], s[38:39], v[73:74]
	v_fma_f64 v[160:161], v[102:103], s[48:49], v[85:86]
	;; [unrolled: 1-line block ×3, first 2 shown]
	v_add_f64_e32 v[112:113], v[164:165], v[112:113]
	v_add_f64_e32 v[126:127], v[180:181], v[126:127]
	;; [unrolled: 1-line block ×3, first 2 shown]
	v_fma_f64 v[71:72], v[102:103], s[30:31], v[71:72]
	v_add_f64_e32 v[114:115], v[166:167], v[114:115]
	v_fma_f64 v[162:163], v[102:103], s[52:53], v[138:139]
	v_fma_f64 v[138:139], v[102:103], s[34:35], v[138:139]
	;; [unrolled: 1-line block ×8, first 2 shown]
	v_add_f64_e32 v[108:109], v[156:157], v[108:109]
	v_add_f64_e32 v[77:78], v[93:94], v[77:78]
	;; [unrolled: 1-line block ×9, first 2 shown]
	v_fma_f64 v[91:92], v[106:107], s[46:47], v[120:121]
	v_fma_f64 v[93:94], v[106:107], s[40:41], v[81:82]
	;; [unrolled: 1-line block ×16, first 2 shown]
	v_add_f64_e32 v[106:107], v[150:151], v[124:125]
	v_add_f64_e32 v[124:125], v[152:153], v[132:133]
	;; [unrolled: 1-line block ×8, first 2 shown]
	v_mul_hi_u32 v95, 0xaaaaaaab, v68
	v_cmp_gt_u32_e64 s0, 34, v96
	v_add_f64_e32 v[108:109], v[168:169], v[108:109]
	v_add_f64_e32 v[77:78], v[102:103], v[77:78]
	;; [unrolled: 1-line block ×9, first 2 shown]
	v_lshrrev_b32_e32 v95, 1, v95
	s_delay_alu instid0(VALU_DEP_1)
	v_lshl_add_u32 v95, v95, 1, v95
	v_add_f64_e32 v[91:92], v[91:92], v[106:107]
	v_add_f64_e32 v[93:94], v[93:94], v[124:125]
	;; [unrolled: 1-line block ×17, first 2 shown]
	v_sub_nc_u32_e32 v20, v68, v95
	v_lshlrev_b32_e32 v21, 3, v96
                                        ; implicit-def: $vgpr104_vgpr105
	s_delay_alu instid0(VALU_DEP_2) | instskip(NEXT) | instid1(VALU_DEP_1)
	v_mul_u32_u24_e32 v20, 0x484, v20
	v_lshlrev_b32_e32 v117, 3, v20
	s_delay_alu instid0(VALU_DEP_1) | instskip(NEXT) | instid1(VALU_DEP_4)
	v_add_nc_u32_e32 v68, 0, v117
	v_add3_u32 v97, 0, v21, v117
	s_delay_alu instid0(VALU_DEP_2) | instskip(NEXT) | instid1(VALU_DEP_2)
	v_mad_u32_u24 v20, 0x88, v96, v68
	v_add_nc_u32_e32 v113, 0xc00, v97
	v_add_nc_u32_e32 v114, v68, v21
	;; [unrolled: 1-line block ×6, first 2 shown]
	v_add_f64_e32 v[69:70], v[12:13], v[69:70]
	s_delay_alu instid0(VALU_DEP_1) | instskip(NEXT) | instid1(VALU_DEP_1)
	v_add_f64_e32 v[69:70], v[8:9], v[69:70]
	v_add_f64_e32 v[69:70], v[4:5], v[69:70]
	s_delay_alu instid0(VALU_DEP_1)
	v_add_f64_e32 v[69:70], v[0:1], v[69:70]
	ds_store_2addr_b64 v20, v[91:92], v[93:94] offset0:4 offset1:5
	ds_store_2addr_b64 v20, v[102:103], v[106:107] offset0:6 offset1:7
	;; [unrolled: 1-line block ×6, first 2 shown]
	ds_store_b64 v20, v[100:101] offset:128
	ds_store_2addr_b64 v20, v[69:70], v[87:88] offset1:1
	ds_store_2addr_b64 v20, v[79:80], v[81:82] offset0:2 offset1:3
	global_wb scope:SCOPE_SE
	s_wait_dscnt 0x0
	s_barrier_signal -1
	s_barrier_wait -1
	global_inv scope:SCOPE_SE
	ds_load_2addr_b64 v[76:79], v113 offset0:92 offset1:194
	ds_load_b64 v[106:107], v114
	ds_load_b64 v[102:103], v97 offset:8432
	ds_load_2addr_b64 v[84:87], v97 offset0:68 offset1:136
	ds_load_2addr_b64 v[80:83], v21 offset0:134 offset1:202
	;; [unrolled: 1-line block ×6, first 2 shown]
	s_and_saveexec_b32 s1, s0
	s_cbranch_execz .LBB0_12
; %bb.11:
	ds_load_b64 v[100:101], v97 offset:4352
	ds_load_b64 v[104:105], v97 offset:8976
.LBB0_12:
	s_wait_alu 0xfffe
	s_or_b32 exec_lo, exec_lo, s1
	v_add_f64_e32 v[108:109], v[54:55], v[22:23]
	v_add_f64_e64 v[0:1], v[52:53], -v[0:1]
	v_add_f64_e64 v[4:5], v[56:57], -v[4:5]
	;; [unrolled: 1-line block ×3, first 2 shown]
	v_add_f64_e32 v[54:55], v[2:3], v[54:55]
	v_add_f64_e32 v[56:57], v[6:7], v[58:59]
	;; [unrolled: 1-line block ×3, first 2 shown]
	v_add_f64_e64 v[16:17], v[48:49], -v[16:17]
	v_add_f64_e64 v[28:29], v[40:41], -v[28:29]
	;; [unrolled: 1-line block ×4, first 2 shown]
	v_add_f64_e32 v[44:45], v[30:31], v[42:43]
	v_add_f64_e64 v[12:13], v[64:65], -v[12:13]
	v_add_f64_e32 v[64:65], v[34:35], v[38:39]
	global_wb scope:SCOPE_SE
	s_wait_dscnt 0x0
	s_barrier_signal -1
	s_barrier_wait -1
	global_inv scope:SCOPE_SE
	v_add_f64_e32 v[108:109], v[58:59], v[108:109]
	v_add_f64_e32 v[58:59], v[10:11], v[62:63]
	v_mul_f64_e32 v[48:49], s[42:43], v[0:1]
	v_mul_f64_e32 v[40:41], s[46:47], v[0:1]
	;; [unrolled: 1-line block ×32, first 2 shown]
	v_add_f64_e32 v[108:109], v[62:63], v[108:109]
	v_mul_f64_e32 v[62:63], s[44:45], v[0:1]
	v_fma_f64 v[162:163], v[54:55], s[20:21], v[48:49]
	v_fma_f64 v[48:49], v[54:55], s[20:21], -v[48:49]
	v_fma_f64 v[164:165], v[54:55], s[18:19], -v[40:41]
	v_fma_f64 v[172:173], v[54:55], s[16:17], v[36:37]
	v_fma_f64 v[174:175], v[54:55], s[10:11], v[115:116]
	v_fma_f64 v[115:116], v[54:55], s[10:11], -v[115:116]
	v_fma_f64 v[36:37], v[54:55], s[16:17], -v[36:37]
	v_fma_f64 v[40:41], v[54:55], s[18:19], v[40:41]
	v_fma_f64 v[184:185], v[56:57], s[18:19], v[118:119]
	v_fma_f64 v[118:119], v[56:57], s[18:19], -v[118:119]
	v_fma_f64 v[186:187], v[56:57], s[2:3], v[120:121]
	v_fma_f64 v[120:121], v[56:57], s[2:3], -v[120:121]
	;; [unrolled: 2-line block ×14, first 2 shown]
	v_add_f64_e32 v[108:109], v[66:67], v[108:109]
	v_mul_f64_e32 v[66:67], s[24:25], v[0:1]
	v_fma_f64 v[166:167], v[54:55], s[2:3], v[62:63]
	v_fma_f64 v[62:63], v[54:55], s[2:3], -v[62:63]
	v_add_f64_e32 v[48:49], v[22:23], v[48:49]
	v_add_f64_e32 v[115:116], v[22:23], v[115:116]
	;; [unrolled: 1-line block ×5, first 2 shown]
	v_fma_f64 v[168:169], v[54:55], s[6:7], v[66:67]
	v_fma_f64 v[66:67], v[54:55], s[6:7], -v[66:67]
	v_add_f64_e32 v[62:63], v[22:23], v[62:63]
	v_add_f64_e32 v[48:49], v[118:119], v[48:49]
	;; [unrolled: 1-line block ×5, first 2 shown]
	v_fma_f64 v[186:187], v[60:61], s[18:19], v[12:13]
	v_fma_f64 v[12:13], v[60:61], s[18:19], -v[12:13]
	v_mul_f64_e32 v[128:129], s[34:35], v[28:29]
	v_add_f64_e32 v[52:53], v[46:47], v[108:109]
	v_mul_f64_e32 v[108:109], s[28:29], v[0:1]
	v_mul_f64_e32 v[0:1], s[50:51], v[0:1]
	v_add_f64_e32 v[66:67], v[22:23], v[66:67]
	v_add_f64_e32 v[62:63], v[124:125], v[62:63]
	v_add_f64_e32 v[48:49], v[130:131], v[48:49]
	v_add_f64_e32 v[46:47], v[26:27], v[46:47]
	v_mul_f64_e32 v[130:131], s[40:41], v[28:29]
	v_add_f64_e32 v[40:41], v[204:205], v[40:41]
	v_add_f64_e32 v[42:43], v[42:43], v[52:53]
	v_mul_f64_e32 v[52:53], s[52:53], v[4:5]
	v_mul_f64_e32 v[4:5], s[36:37], v[4:5]
	v_fma_f64 v[170:171], v[54:55], s[14:15], v[108:109]
	v_fma_f64 v[108:109], v[54:55], s[14:15], -v[108:109]
	v_fma_f64 v[176:177], v[54:55], s[12:13], -v[0:1]
	v_fma_f64 v[0:1], v[54:55], s[12:13], v[0:1]
	v_mul_f64_e32 v[54:55], s[50:51], v[16:17]
	v_add_f64_e32 v[62:63], v[136:137], v[62:63]
	v_fma_f64 v[136:137], v[50:51], s[6:7], v[158:159]
	v_add_f64_e32 v[38:39], v[38:39], v[42:43]
	v_fma_f64 v[192:193], v[56:57], s[16:17], v[52:53]
	v_fma_f64 v[52:53], v[56:57], s[16:17], -v[52:53]
	v_fma_f64 v[198:199], v[56:57], s[20:21], v[4:5]
	v_fma_f64 v[4:5], v[56:57], s[20:21], -v[4:5]
	v_add_f64_e32 v[56:57], v[22:23], v[162:163]
	v_add_f64_e32 v[162:163], v[22:23], v[164:165]
	;; [unrolled: 1-line block ×10, first 2 shown]
	v_mul_f64_e32 v[42:43], s[30:31], v[16:17]
	v_mul_f64_e32 v[16:17], s[28:29], v[16:17]
	;; [unrolled: 1-line block ×4, first 2 shown]
	v_add_f64_e32 v[34:35], v[34:35], v[38:39]
	v_mul_f64_e32 v[38:39], s[48:49], v[24:25]
	v_add_f64_e32 v[52:53], v[52:53], v[66:67]
	v_add_f64_e32 v[4:5], v[4:5], v[115:116]
	;; [unrolled: 1-line block ×12, first 2 shown]
	v_fma_f64 v[164:165], v[60:61], s[2:3], v[144:145]
	v_fma_f64 v[144:145], v[60:61], s[2:3], -v[144:145]
	v_fma_f64 v[166:167], v[60:61], s[10:11], v[146:147]
	v_fma_f64 v[146:147], v[60:61], s[10:11], -v[146:147]
	v_fma_f64 v[168:169], v[60:61], s[6:7], v[148:149]
	v_fma_f64 v[148:149], v[60:61], s[6:7], -v[148:149]
	v_fma_f64 v[170:171], v[60:61], s[20:21], v[150:151]
	v_fma_f64 v[150:151], v[60:61], s[20:21], -v[150:151]
	v_fma_f64 v[172:173], v[60:61], s[12:13], v[152:153]
	v_fma_f64 v[152:153], v[60:61], s[12:13], -v[152:153]
	v_fma_f64 v[174:175], v[60:61], s[16:17], v[154:155]
	v_fma_f64 v[154:155], v[60:61], s[16:17], -v[154:155]
	v_fma_f64 v[184:185], v[60:61], s[14:15], v[156:157]
	v_fma_f64 v[156:157], v[60:61], s[14:15], -v[156:157]
	v_mul_f64_e32 v[115:116], s[46:47], v[24:25]
	v_mul_f64_e32 v[122:123], s[38:39], v[24:25]
	v_fma_f64 v[188:189], v[50:51], s[2:3], v[180:181]
	v_fma_f64 v[180:181], v[50:51], s[2:3], -v[180:181]
	v_fma_f64 v[190:191], v[50:51], s[20:21], v[182:183]
	v_fma_f64 v[182:183], v[50:51], s[20:21], -v[182:183]
	;; [unrolled: 2-line block ×3, first 2 shown]
	v_add_f64_e32 v[30:31], v[30:31], v[34:35]
	v_mul_f64_e32 v[34:35], s[22:23], v[24:25]
	v_mul_f64_e32 v[24:25], s[26:27], v[24:25]
	v_add_f64_e32 v[4:5], v[8:9], v[4:5]
	v_add_f64_e32 v[56:57], v[202:203], v[56:57]
	;; [unrolled: 1-line block ×13, first 2 shown]
	v_fma_f64 v[138:139], v[50:51], s[6:7], -v[158:159]
	v_fma_f64 v[140:141], v[50:51], s[16:17], v[160:161]
	v_fma_f64 v[142:143], v[50:51], s[16:17], -v[160:161]
	v_fma_f64 v[158:159], v[50:51], s[18:19], v[42:43]
	;; [unrolled: 2-line block ×4, first 2 shown]
	v_fma_f64 v[178:179], v[50:51], s[10:11], -v[178:179]
	v_add_f64_e32 v[48:49], v[144:145], v[48:49]
	v_add_f64_e32 v[40:41], v[166:167], v[40:41]
	v_mul_f64_e32 v[66:67], s[44:45], v[28:29]
	v_mul_f64_e32 v[132:133], s[42:43], v[28:29]
	;; [unrolled: 1-line block ×3, first 2 shown]
	v_fma_f64 v[166:167], v[46:47], s[18:19], v[115:116]
	v_fma_f64 v[115:116], v[46:47], s[18:19], -v[115:116]
	v_mul_f64_e32 v[144:145], s[34:35], v[32:33]
	v_add_f64_e32 v[26:27], v[26:27], v[30:31]
	v_mul_f64_e32 v[30:31], s[26:27], v[28:29]
	v_add_f64_e32 v[4:5], v[12:13], v[4:5]
	v_add_f64_e32 v[50:51], v[164:165], v[56:57]
	v_add_f64_e32 v[56:57], v[146:147], v[58:59]
	v_add_f64_e32 v[58:59], v[170:171], v[60:61]
	v_add_f64_e32 v[60:61], v[150:151], v[62:63]
	v_add_f64_e32 v[62:63], v[172:173], v[118:119]
	v_add_f64_e32 v[118:119], v[174:175], v[120:121]
	v_add_f64_e32 v[108:109], v[154:155], v[108:109]
	v_add_f64_e32 v[120:121], v[184:185], v[124:125]
	v_add_f64_e32 v[124:125], v[186:187], v[126:127]
	v_add_f64_e32 v[8:9], v[156:157], v[8:9]
	v_add_f64_e32 v[12:13], v[152:153], v[36:37]
	v_add_f64_e32 v[36:37], v[148:149], v[52:53]
	v_add_f64_e32 v[0:1], v[168:169], v[0:1]
	v_fma_f64 v[146:147], v[46:47], s[14:15], v[22:23]
	v_fma_f64 v[22:23], v[46:47], s[14:15], -v[22:23]
	v_fma_f64 v[148:149], v[46:47], s[6:7], v[38:39]
	v_fma_f64 v[38:39], v[46:47], s[6:7], -v[38:39]
	;; [unrolled: 2-line block ×7, first 2 shown]
	v_add_f64_e32 v[48:49], v[138:139], v[48:49]
	v_mul_f64_e32 v[52:53], s[38:39], v[32:33]
	v_fma_f64 v[138:139], v[44:45], s[2:3], v[66:67]
	v_fma_f64 v[66:67], v[44:45], s[2:3], -v[66:67]
	v_mul_f64_e32 v[126:127], s[36:37], v[32:33]
	v_add_f64_e32 v[18:19], v[18:19], v[26:27]
	v_mul_f64_e32 v[26:27], s[30:31], v[28:29]
	v_mul_f64_e32 v[28:29], s[24:25], v[28:29]
	v_add_f64_e32 v[4:5], v[16:17], v[4:5]
	v_add_f64_e32 v[46:47], v[136:137], v[50:51]
	;; [unrolled: 1-line block ×15, first 2 shown]
	v_mul_f64_e32 v[40:41], s[28:29], v[32:33]
	v_fma_f64 v[124:125], v[44:45], s[16:17], v[128:129]
	v_fma_f64 v[128:129], v[44:45], s[16:17], -v[128:129]
	v_fma_f64 v[136:137], v[44:45], s[12:13], v[30:31]
	v_fma_f64 v[30:31], v[44:45], s[12:13], -v[30:31]
	;; [unrolled: 2-line block ×5, first 2 shown]
	v_mul_f64_e32 v[42:43], s[26:27], v[32:33]
	v_mul_f64_e32 v[120:121], s[24:25], v[32:33]
	v_add_f64_e32 v[22:23], v[22:23], v[48:49]
	v_add_f64_e32 v[14:15], v[14:15], v[18:19]
	v_mul_f64_e32 v[18:19], s[30:31], v[32:33]
	v_fma_f64 v[160:161], v[44:45], s[18:19], v[26:27]
	v_fma_f64 v[26:27], v[44:45], s[18:19], -v[26:27]
	v_fma_f64 v[162:163], v[44:45], s[6:7], v[28:29]
	v_fma_f64 v[28:29], v[44:45], s[6:7], -v[28:29]
	v_add_f64_e32 v[44:45], v[146:147], v[46:47]
	v_add_f64_e32 v[38:39], v[38:39], v[50:51]
	;; [unrolled: 1-line block ×8, first 2 shown]
	v_mul_f64_e32 v[32:33], s[22:23], v[32:33]
	v_add_f64_e32 v[60:61], v[170:171], v[118:119]
	v_add_f64_e32 v[4:5], v[24:25], v[4:5]
	;; [unrolled: 1-line block ×7, first 2 shown]
	v_fma_f64 v[34:35], v[64:65], s[10:11], -v[52:53]
	v_fma_f64 v[122:123], v[64:65], s[14:15], v[40:41]
	v_fma_f64 v[36:37], v[64:65], s[20:21], v[126:127]
	;; [unrolled: 1-line block ×3, first 2 shown]
	v_fma_f64 v[115:116], v[64:65], s[16:17], -v[144:145]
	v_fma_f64 v[40:41], v[64:65], s[14:15], -v[40:41]
	v_fma_f64 v[144:145], v[64:65], s[6:7], v[120:121]
	v_add_f64_e32 v[22:23], v[128:129], v[22:23]
	v_fma_f64 v[120:121], v[64:65], s[6:7], -v[120:121]
	v_add_f64_e32 v[10:11], v[10:11], v[14:15]
	v_fma_f64 v[118:119], v[64:65], s[18:19], v[18:19]
	v_fma_f64 v[14:15], v[64:65], s[10:11], v[52:53]
	v_fma_f64 v[52:53], v[64:65], s[20:21], -v[126:127]
	v_fma_f64 v[126:127], v[64:65], s[12:13], v[42:43]
	v_fma_f64 v[42:43], v[64:65], s[12:13], -v[42:43]
	v_add_f64_e32 v[44:45], v[124:125], v[44:45]
	v_add_f64_e32 v[30:31], v[30:31], v[38:39]
	;; [unrolled: 1-line block ×8, first 2 shown]
	v_fma_f64 v[146:147], v[64:65], s[2:3], v[32:33]
	v_fma_f64 v[32:33], v[64:65], s[2:3], -v[32:33]
	v_add_f64_e32 v[58:59], v[162:163], v[60:61]
	v_add_f64_e32 v[4:5], v[28:29], v[4:5]
	;; [unrolled: 1-line block ×3, first 2 shown]
	v_fma_f64 v[18:19], v[64:65], s[18:19], -v[18:19]
	v_add_f64_e32 v[12:13], v[132:133], v[12:13]
	v_add_f64_e32 v[16:17], v[66:67], v[16:17]
	;; [unrolled: 1-line block ×22, first 2 shown]
	ds_store_2addr_b64 v20, v[22:23], v[26:27] offset0:4 offset1:5
	ds_store_2addr_b64 v20, v[28:29], v[34:35] offset0:6 offset1:7
	;; [unrolled: 1-line block ×6, first 2 shown]
	ds_store_b64 v20, v[108:109] offset:128
	ds_store_2addr_b64 v20, v[2:3], v[10:11] offset1:1
	ds_store_2addr_b64 v20, v[24:25], v[0:1] offset0:2 offset1:3
	global_wb scope:SCOPE_SE
	s_wait_dscnt 0x0
	s_barrier_signal -1
	s_barrier_wait -1
	global_inv scope:SCOPE_SE
	ds_load_2addr_b64 v[0:3], v113 offset0:92 offset1:194
	ds_load_2addr_b64 v[4:7], v97 offset0:68 offset1:136
	;; [unrolled: 1-line block ×7, first 2 shown]
	ds_load_b64 v[66:67], v114
	ds_load_b64 v[112:113], v97 offset:8432
                                        ; implicit-def: $vgpr110_vgpr111
	s_and_saveexec_b32 s1, s0
	s_cbranch_execz .LBB0_14
; %bb.13:
	ds_load_b64 v[108:109], v97 offset:4352
	ds_load_b64 v[110:111], v97 offset:8976
.LBB0_14:
	s_wait_alu 0xfffe
	s_or_b32 exec_lo, exec_lo, s1
	v_add_nc_u16 v28, v96, 0x44
	v_add_nc_u16 v29, v96, 0x88
	v_and_b32_e32 v30, 0xff, v96
	v_add_nc_u32_e32 v36, 0xcc, v96
	v_add_nc_u32_e32 v37, 0x110, v96
	v_and_b32_e32 v31, 0xff, v28
	v_and_b32_e32 v32, 0xff, v29
	v_mul_lo_u16 v30, 0xf1, v30
	v_add_nc_u32_e32 v38, 0x154, v96
	v_add_nc_u32_e32 v116, 0x198, v96
	v_mul_lo_u16 v31, 0xf1, v31
	v_mul_lo_u16 v32, 0xf1, v32
	v_add_nc_u32_e32 v115, 0x1dc, v96
	v_lshrrev_b16 v137, 12, v30
	v_and_b32_e32 v30, 0xffff, v36
	v_lshrrev_b16 v138, 12, v31
	v_lshrrev_b16 v139, 12, v32
	v_and_b32_e32 v31, 0xffff, v37
	v_and_b32_e32 v34, 0xffff, v38
	;; [unrolled: 1-line block ×3, first 2 shown]
	v_mul_lo_u16 v33, v138, 17
	v_mul_lo_u16 v39, v139, 17
	v_mul_u32_u24_e32 v40, 0xf0f1, v30
	v_mul_u32_u24_e32 v41, 0xf0f1, v34
	v_mul_lo_u16 v32, v137, 17
	v_sub_nc_u16 v28, v28, v33
	v_and_b32_e32 v33, 0xffff, v115
	v_sub_nc_u16 v29, v29, v39
	v_mul_u32_u24_e32 v39, 0xf0f1, v31
	v_mul_u32_u24_e32 v42, 0xf0f1, v35
	v_lshrrev_b32_e32 v148, 20, v40
	v_mul_u32_u24_e32 v43, 0xf0f1, v33
	v_lshrrev_b32_e32 v150, 20, v41
	v_lshrrev_b32_e32 v149, 20, v39
	v_sub_nc_u16 v32, v96, v32
	v_lshrrev_b32_e32 v151, 20, v42
	v_lshrrev_b32_e32 v152, 20, v43
	v_mul_lo_u16 v39, v148, 17
	v_mul_lo_u16 v40, v149, 17
	;; [unrolled: 1-line block ×3, first 2 shown]
	v_and_b32_e32 v145, 0xff, v32
	v_mul_lo_u16 v42, v151, 17
	v_mul_lo_u16 v43, v152, 17
	v_and_b32_e32 v146, 0xff, v28
	v_sub_nc_u16 v36, v36, v39
	v_sub_nc_u16 v37, v37, v40
	;; [unrolled: 1-line block ×3, first 2 shown]
	v_lshlrev_b32_e32 v28, 4, v145
	v_sub_nc_u16 v39, v116, v42
	v_sub_nc_u16 v40, v115, v43
	v_and_b32_e32 v147, 0xff, v29
	v_lshlrev_b32_e32 v32, 4, v146
	v_add_nc_u32_e32 v118, 0x220, v96
	v_and_b32_e32 v153, 0xffff, v36
	v_and_b32_e32 v154, 0xffff, v37
	;; [unrolled: 1-line block ×3, first 2 shown]
	s_clause 0x1
	global_load_b128 v[28:31], v28, s[4:5]
	global_load_b128 v[32:35], v32, s[4:5]
	v_and_b32_e32 v156, 0xffff, v39
	v_and_b32_e32 v157, 0xffff, v40
	v_lshlrev_b32_e32 v44, 4, v147
	v_lshlrev_b32_e32 v40, 4, v153
	v_and_b32_e32 v60, 0xffff, v118
	v_lshlrev_b32_e32 v45, 4, v154
	v_lshlrev_b32_e32 v48, 4, v155
	;; [unrolled: 1-line block ×4, first 2 shown]
	s_clause 0x5
	global_load_b128 v[36:39], v44, s[4:5]
	global_load_b128 v[40:43], v40, s[4:5]
	;; [unrolled: 1-line block ×6, first 2 shown]
	v_mul_u32_u24_e32 v60, 0xf0f1, v60
	v_and_b32_e32 v161, 0xffff, v138
	v_and_b32_e32 v162, 0xffff, v139
	s_delay_alu instid0(VALU_DEP_3) | instskip(NEXT) | instid1(VALU_DEP_1)
	v_lshrrev_b32_e32 v158, 20, v60
	v_mul_lo_u16 v60, v158, 17
	s_delay_alu instid0(VALU_DEP_1) | instskip(NEXT) | instid1(VALU_DEP_1)
	v_sub_nc_u16 v60, v118, v60
	v_and_b32_e32 v159, 0xffff, v60
	s_delay_alu instid0(VALU_DEP_1)
	v_lshlrev_b32_e32 v60, 4, v159
	global_load_b128 v[60:63], v60, s[4:5]
	global_wb scope:SCOPE_SE
	s_wait_loadcnt_dscnt 0x0
	s_barrier_signal -1
	s_barrier_wait -1
	global_inv scope:SCOPE_SE
	v_mul_f64_e32 v[64:65], v[2:3], v[30:31]
	v_mul_f64_e32 v[119:120], v[16:17], v[34:35]
	;; [unrolled: 1-line block ×8, first 2 shown]
	v_fma_f64 v[64:65], v[78:79], v[28:29], -v[64:65]
	v_fma_f64 v[119:120], v[80:81], v[32:33], -v[119:120]
	v_mul_f64_e32 v[133:134], v[110:111], v[62:63]
	v_fma_f64 v[121:122], v[82:83], v[36:37], -v[121:122]
	v_fma_f64 v[123:124], v[72:73], v[40:41], -v[123:124]
	;; [unrolled: 1-line block ×6, first 2 shown]
	v_add_f64_e64 v[135:136], v[106:107], -v[64:65]
	v_add_f64_e64 v[119:120], v[84:85], -v[119:120]
	v_fma_f64 v[64:65], v[104:105], v[60:61], -v[133:134]
	v_and_b32_e32 v133, 0xffff, v137
	v_add_f64_e64 v[121:122], v[86:87], -v[121:122]
	v_add_f64_e64 v[123:124], v[88:89], -v[123:124]
	;; [unrolled: 1-line block ×6, first 2 shown]
	v_mad_u32_u24 v160, 0x110, v133, 0
	v_fma_f64 v[106:107], v[106:107], 2.0, -v[135:136]
	v_fma_f64 v[133:134], v[84:85], 2.0, -v[119:120]
	v_mad_u32_u24 v85, 0x110, v161, 0
	v_add_f64_e64 v[64:65], v[100:101], -v[64:65]
	v_fma_f64 v[137:138], v[86:87], 2.0, -v[121:122]
	v_fma_f64 v[139:140], v[88:89], 2.0, -v[123:124]
	;; [unrolled: 1-line block ×6, first 2 shown]
	v_mad_u32_u24 v87, 0x110, v148, 0
	v_mad_u32_u24 v88, 0x110, v149, 0
	;; [unrolled: 1-line block ×4, first 2 shown]
	v_lshlrev_b32_e32 v77, 3, v145
	v_mad_u32_u24 v91, 0x110, v152, 0
	v_mad_u32_u24 v86, 0x110, v162, 0
	v_lshlrev_b32_e32 v145, 3, v146
	v_lshlrev_b32_e32 v146, 3, v147
	;; [unrolled: 1-line block ×7, first 2 shown]
	v_mul_lo_u16 v76, v158, 34
	v_add3_u32 v84, v160, v77, v117
	v_lshl_add_u32 v77, v159, 3, 0
	v_add3_u32 v85, v85, v145, v117
	v_add3_u32 v86, v86, v146, v117
	;; [unrolled: 1-line block ×7, first 2 shown]
	ds_store_2addr_b64 v84, v[106:107], v[135:136] offset1:17
	ds_store_2addr_b64 v85, v[133:134], v[119:120] offset1:17
	;; [unrolled: 1-line block ×8, first 2 shown]
	s_and_saveexec_b32 s1, s0
	s_cbranch_execz .LBB0_16
; %bb.15:
	v_fma_f64 v[92:93], v[100:101], 2.0, -v[64:65]
	v_and_b32_e32 v94, 0xffff, v76
	s_delay_alu instid0(VALU_DEP_1) | instskip(NEXT) | instid1(VALU_DEP_1)
	v_lshlrev_b32_e32 v94, 3, v94
	v_add3_u32 v94, v77, v94, v117
	ds_store_2addr_b64 v94, v[92:93], v[64:65] offset1:17
.LBB0_16:
	s_wait_alu 0xfffe
	s_or_b32 exec_lo, exec_lo, s1
	v_mul_f64_e32 v[30:31], v[78:79], v[30:31]
	v_mul_f64_e32 v[34:35], v[80:81], v[34:35]
	;; [unrolled: 1-line block ×8, first 2 shown]
	v_add_nc_u32_e32 v82, 0x800, v97
	v_add_nc_u32_e32 v83, 0xc00, v97
	;; [unrolled: 1-line block ×4, first 2 shown]
	global_wb scope:SCOPE_SE
	s_wait_dscnt 0x0
	s_barrier_signal -1
	s_barrier_wait -1
	global_inv scope:SCOPE_SE
	v_add_nc_u32_e32 v103, 0x1800, v97
	v_add_nc_u32_e32 v69, 0x1c00, v97
	v_fma_f64 v[2:3], v[2:3], v[28:29], v[30:31]
	v_mul_f64_e32 v[30:31], v[104:105], v[62:63]
	v_fma_f64 v[16:17], v[16:17], v[32:33], v[34:35]
	v_fma_f64 v[18:19], v[18:19], v[36:37], v[38:39]
	;; [unrolled: 1-line block ×7, first 2 shown]
	v_add_nc_u32_e32 v63, 0x400, v97
	v_add_f64_e64 v[32:33], v[66:67], -v[2:3]
	v_fma_f64 v[2:3], v[110:111], v[60:61], v[30:31]
	v_add_f64_e64 v[34:35], v[4:5], -v[16:17]
	v_add_f64_e64 v[36:37], v[6:7], -v[18:19]
	;; [unrolled: 1-line block ×7, first 2 shown]
	v_fma_f64 v[30:31], v[66:67], 2.0, -v[32:33]
	v_add_f64_e64 v[56:57], v[108:109], -v[2:3]
	v_fma_f64 v[42:43], v[4:5], 2.0, -v[34:35]
	v_fma_f64 v[52:53], v[6:7], 2.0, -v[36:37]
	;; [unrolled: 1-line block ×7, first 2 shown]
	ds_load_b64 v[66:67], v114
	ds_load_2addr_b64 v[48:51], v97 offset0:68 offset1:136
	ds_load_2addr_b64 v[44:47], v63 offset0:76 offset1:144
	;; [unrolled: 1-line block ×8, first 2 shown]
	global_wb scope:SCOPE_SE
	s_wait_dscnt 0x0
	s_barrier_signal -1
	s_barrier_wait -1
	global_inv scope:SCOPE_SE
	ds_store_2addr_b64 v84, v[30:31], v[32:33] offset1:17
	ds_store_2addr_b64 v85, v[42:43], v[34:35] offset1:17
	;; [unrolled: 1-line block ×8, first 2 shown]
	s_and_saveexec_b32 s1, s0
	s_cbranch_execz .LBB0_18
; %bb.17:
	v_fma_f64 v[24:25], v[108:109], 2.0, -v[56:57]
	v_and_b32_e32 v26, 0xffff, v76
	s_delay_alu instid0(VALU_DEP_1) | instskip(NEXT) | instid1(VALU_DEP_1)
	v_lshlrev_b32_e32 v26, 3, v26
	v_add3_u32 v26, v77, v26, v117
	ds_store_2addr_b64 v26, v[24:25], v[56:57] offset1:17
.LBB0_18:
	s_wait_alu 0xfffe
	s_or_b32 exec_lo, exec_lo, s1
	v_subrev_nc_u32_e32 v58, 34, v96
	global_wb scope:SCOPE_SE
	s_wait_dscnt 0x0
	s_barrier_signal -1
	s_barrier_wait -1
	global_inv scope:SCOPE_SE
	v_cndmask_b32_e64 v108, v58, v96, s0
	v_mov_b32_e32 v25, 0
	s_mov_b32 s16, 0x5d8e7cdc
	s_mov_b32 s20, 0x2a9d6da3
	;; [unrolled: 1-line block ×3, first 2 shown]
	v_lshlrev_b32_e32 v24, 4, v108
	s_mov_b32 s17, 0xbfd71e95
	s_mov_b32 s21, 0xbfe58eea
	;; [unrolled: 1-line block ×4, first 2 shown]
	v_lshlrev_b64_e32 v[24:25], 4, v[24:25]
	s_mov_b32 s14, 0x923c349f
	s_mov_b32 s19, 0xbfefdd0d
	;; [unrolled: 1-line block ×5, first 2 shown]
	v_add_co_u32 v24, s1, s4, v24
	s_wait_alu 0xf1ff
	v_add_co_ci_u32_e64 v25, s1, s5, v25, s1
	s_mov_b32 s31, 0xbfe9895b
	s_mov_b32 s35, 0xbfe0d888
	;; [unrolled: 1-line block ×3, first 2 shown]
	s_clause 0xf
	global_load_b128 v[70:73], v[24:25], off offset:272
	global_load_b128 v[40:43], v[24:25], off offset:288
	;; [unrolled: 1-line block ×16, first 2 shown]
	ds_load_2addr_b64 v[92:95], v97 offset0:68 offset1:136
	ds_load_2addr_b64 v[139:142], v63 offset0:76 offset1:144
	;; [unrolled: 1-line block ×3, first 2 shown]
	s_mov_b32 s37, 0xbfc7851a
	s_mov_b32 s2, 0x370991
	;; [unrolled: 1-line block ×13, first 2 shown]
	s_wait_alu 0xfffe
	s_mov_b32 s52, s34
	s_mov_b32 s50, s14
	;; [unrolled: 1-line block ×20, first 2 shown]
	v_cmp_lt_u32_e64 s1, 33, v96
	s_wait_loadcnt_dscnt 0xf02
	v_mul_f64_e32 v[52:53], v[92:93], v[72:73]
	s_wait_loadcnt 0xe
	v_mul_f64_e32 v[54:55], v[94:95], v[42:43]
	v_mul_f64_e32 v[42:43], v[50:51], v[42:43]
	s_wait_loadcnt_dscnt 0xc01
	v_mul_f64_e32 v[104:105], v[141:142], v[34:35]
	s_wait_loadcnt_dscnt 0xb00
	v_mul_f64_e32 v[163:164], v[143:144], v[76:77]
	s_wait_loadcnt 0x8
	v_mul_f64_e32 v[165:166], v[145:146], v[90:91]
	v_mul_f64_e32 v[169:170], v[22:23], v[90:91]
	s_wait_loadcnt 0x6
	v_mul_f64_e32 v[167:168], v[12:13], v[121:122]
	s_wait_loadcnt 0x1
	v_mul_f64_e32 v[181:182], v[6:7], v[30:31]
	v_fma_f64 v[61:62], v[48:49], v[70:71], -v[52:53]
	v_mul_f64_e32 v[52:53], v[139:140], v[38:39]
	v_fma_f64 v[59:60], v[50:51], v[40:41], -v[54:55]
	v_mul_f64_e32 v[50:51], v[16:17], v[86:87]
	v_mul_f64_e32 v[38:39], v[44:45], v[38:39]
	v_add_f64_e32 v[100:101], v[66:67], v[61:62]
	v_fma_f64 v[54:55], v[44:45], v[36:37], -v[52:53]
	v_fma_f64 v[52:53], v[46:47], v[32:33], -v[104:105]
	ds_load_2addr_b64 v[147:150], v83 offset0:92 offset1:160
	ds_load_2addr_b64 v[151:154], v102 offset0:100 offset1:168
	;; [unrolled: 1-line block ×5, first 2 shown]
	v_mul_f64_e32 v[68:69], v[48:49], v[72:73]
	v_mul_f64_e32 v[72:73], v[18:19], v[80:81]
	v_fma_f64 v[48:49], v[20:21], v[74:75], -v[163:164]
	v_mul_f64_e32 v[44:45], v[14:15], v[111:112]
	v_mul_f64_e32 v[163:164], v[46:47], v[34:35]
	;; [unrolled: 1-line block ×3, first 2 shown]
	v_fma_f64 v[90:91], v[139:140], v[36:37], v[38:39]
	s_wait_dscnt 0x4
	v_mul_f64_e32 v[171:172], v[147:148], v[125:126]
	s_wait_dscnt 0x3
	v_mul_f64_e32 v[177:178], v[153:154], v[137:138]
	v_mul_f64_e32 v[137:138], v[2:3], v[137:138]
	s_wait_dscnt 0x1
	v_mul_f64_e32 v[111:112], v[106:107], v[111:112]
	s_wait_dscnt 0x0
	v_mul_f64_e32 v[80:81], v[161:162], v[80:81]
	v_mul_f64_e32 v[76:77], v[159:160], v[86:87]
	;; [unrolled: 1-line block ×3, first 2 shown]
	v_fma_f64 v[86:87], v[94:95], v[40:41], v[42:43]
	v_mul_f64_e32 v[173:174], v[157:158], v[129:130]
	v_mul_f64_e32 v[129:130], v[10:11], v[129:130]
	;; [unrolled: 1-line block ×5, first 2 shown]
	s_wait_loadcnt 0x0
	v_mul_f64_e32 v[179:180], v[151:152], v[26:27]
	v_mul_f64_e32 v[26:27], v[0:1], v[26:27]
	v_add_f64_e32 v[100:101], v[100:101], v[59:60]
	v_fma_f64 v[46:47], v[92:93], v[70:71], v[68:69]
	v_fma_f64 v[34:35], v[161:162], v[78:79], v[72:73]
	v_mul_f64_e32 v[161:162], v[149:150], v[30:31]
	v_fma_f64 v[70:71], v[22:23], v[88:89], -v[165:166]
	v_fma_f64 v[30:31], v[159:160], v[84:85], v[50:51]
	v_fma_f64 v[36:37], v[106:107], v[109:110], v[44:45]
	;; [unrolled: 1-line block ×5, first 2 shown]
	v_fma_f64 v[50:51], v[4:5], v[123:124], -v[171:172]
	v_fma_f64 v[68:69], v[2:3], v[135:136], -v[177:178]
	v_fma_f64 v[42:43], v[153:154], v[135:136], v[137:138]
	v_fma_f64 v[106:107], v[18:19], v[78:79], -v[80:81]
	v_fma_f64 v[104:105], v[16:17], v[84:85], -v[76:77]
	;; [unrolled: 1-line block ×3, first 2 shown]
	v_fma_f64 v[78:79], v[143:144], v[74:75], v[20:21]
	v_fma_f64 v[80:81], v[10:11], v[127:128], -v[173:174]
	v_fma_f64 v[38:39], v[157:158], v[127:128], v[129:130]
	v_fma_f64 v[44:45], v[147:148], v[123:124], v[125:126]
	v_fma_f64 v[74:75], v[8:9], v[131:132], -v[175:176]
	v_fma_f64 v[40:41], v[155:156], v[131:132], v[133:134]
	v_fma_f64 v[76:77], v[149:150], v[28:29], v[181:182]
	v_fma_f64 v[88:89], v[0:1], v[24:25], -v[179:180]
	v_add_f64_e32 v[100:101], v[100:101], v[54:55]
	v_add_f64_e64 v[2:3], v[46:47], -v[34:35]
	v_fma_f64 v[84:85], v[6:7], v[28:29], -v[161:162]
	v_fma_f64 v[28:29], v[151:152], v[24:25], v[26:27]
	v_add_f64_e64 v[4:5], v[86:87], -v[30:31]
	v_add_f64_e64 v[8:9], v[90:91], -v[36:37]
	v_add_f64_e64 v[10:11], v[92:93], -v[32:33]
	v_add_f64_e32 v[26:27], v[50:51], v[68:69]
	v_add_f64_e32 v[12:13], v[61:62], v[106:107]
	;; [unrolled: 1-line block ×4, first 2 shown]
	v_add_f64_e64 v[119:120], v[44:45], -v[42:43]
	v_add_f64_e32 v[0:1], v[70:71], v[74:75]
	v_add_f64_e64 v[24:25], v[72:73], -v[40:41]
	v_add_f64_e32 v[100:101], v[100:101], v[52:53]
	v_mul_f64_e32 v[121:122], s[28:29], v[2:3]
	v_mul_f64_e32 v[123:124], s[18:19], v[2:3]
	;; [unrolled: 1-line block ×9, first 2 shown]
	s_wait_alu 0xfffe
	v_mul_f64_e32 v[143:144], s[52:53], v[4:5]
	v_mul_f64_e32 v[145:146], s[50:51], v[4:5]
	;; [unrolled: 1-line block ×22, first 2 shown]
	v_add_f64_e64 v[131:132], v[76:77], -v[28:29]
	v_add_f64_e32 v[125:126], v[84:85], v[88:89]
	v_add_f64_e32 v[22:23], v[100:101], v[48:49]
	v_fma_f64 v[100:101], v[14:15], v[109:110], -v[111:112]
	v_mul_f64_e32 v[109:110], s[16:17], v[2:3]
	v_mul_f64_e32 v[111:112], s[20:21], v[2:3]
	;; [unrolled: 1-line block ×3, first 2 shown]
	v_add_f64_e32 v[14:15], v[59:60], v[104:105]
	v_fma_f64 v[185:186], v[12:13], s[10:11], -v[121:122]
	v_fma_f64 v[187:188], v[12:13], s[12:13], -v[123:124]
	v_fma_f64 v[123:124], v[12:13], s[12:13], v[123:124]
	v_fma_f64 v[189:190], v[12:13], s[22:23], -v[127:128]
	v_fma_f64 v[191:192], v[12:13], s[24:25], -v[129:130]
	v_fma_f64 v[129:130], v[12:13], s[24:25], v[129:130]
	v_fma_f64 v[193:194], v[12:13], s[26:27], -v[133:134]
	v_fma_f64 v[133:134], v[12:13], s[26:27], v[133:134]
	v_fma_f64 v[127:128], v[12:13], s[22:23], v[127:128]
	;; [unrolled: 1-line block ×3, first 2 shown]
	v_add_f64_e32 v[6:7], v[22:23], v[70:71]
	v_add_f64_e32 v[16:17], v[54:55], v[100:101]
	v_fma_f64 v[181:182], v[12:13], s[2:3], -v[109:110]
	v_fma_f64 v[183:184], v[12:13], s[6:7], -v[111:112]
	v_fma_f64 v[111:112], v[12:13], s[6:7], v[111:112]
	v_fma_f64 v[195:196], v[12:13], s[38:39], -v[2:3]
	v_fma_f64 v[2:3], v[12:13], s[38:39], v[2:3]
	v_fma_f64 v[12:13], v[12:13], s[2:3], v[109:110]
	v_fma_f64 v[205:206], v[14:15], s[6:7], -v[135:136]
	v_fma_f64 v[135:136], v[14:15], s[6:7], v[135:136]
	v_fma_f64 v[207:208], v[14:15], s[12:13], -v[137:138]
	;; [unrolled: 2-line block ×8, first 2 shown]
	v_fma_f64 v[4:5], v[14:15], s[2:3], v[4:5]
	v_add_f64_e32 v[123:124], v[66:67], v[123:124]
	v_add_f64_e32 v[129:130], v[66:67], v[129:130]
	;; [unrolled: 1-line block ×5, first 2 shown]
	v_add_f64_e64 v[22:23], v[78:79], -v[38:39]
	v_add_f64_e32 v[6:7], v[6:7], v[50:51]
	v_fma_f64 v[225:226], v[16:17], s[10:11], -v[149:150]
	v_add_f64_e32 v[14:15], v[66:67], v[181:182]
	v_add_f64_e32 v[181:182], v[66:67], v[183:184]
	;; [unrolled: 1-line block ×11, first 2 shown]
	v_fma_f64 v[149:150], v[16:17], s[10:11], v[149:150]
	v_fma_f64 v[227:228], v[16:17], s[24:25], -v[151:152]
	v_fma_f64 v[151:152], v[16:17], s[24:25], v[151:152]
	v_fma_f64 v[229:230], v[16:17], s[38:39], -v[153:154]
	;; [unrolled: 2-line block ×7, first 2 shown]
	v_fma_f64 v[8:9], v[16:17], s[26:27], v[8:9]
	v_add_f64_e32 v[123:124], v[141:142], v[123:124]
	v_add_f64_e32 v[129:130], v[145:146], v[129:130]
	;; [unrolled: 1-line block ×4, first 2 shown]
	v_mul_f64_e32 v[177:178], s[14:15], v[22:23]
	v_mul_f64_e32 v[179:180], s[52:53], v[22:23]
	;; [unrolled: 1-line block ×6, first 2 shown]
	v_add_f64_e32 v[6:7], v[6:7], v[84:85]
	v_mul_f64_e32 v[203:204], s[16:17], v[22:23]
	v_add_f64_e32 v[14:15], v[205:206], v[14:15]
	v_add_f64_e32 v[16:17], v[207:208], v[181:182]
	;; [unrolled: 1-line block ×12, first 2 shown]
	v_mul_f64_e32 v[22:23], s[30:31], v[22:23]
	v_fma_f64 v[147:148], v[18:19], s[12:13], -v[163:164]
	v_fma_f64 v[163:164], v[18:19], s[12:13], v[163:164]
	v_fma_f64 v[187:188], v[18:19], s[38:39], -v[165:166]
	v_fma_f64 v[165:166], v[18:19], s[38:39], v[165:166]
	;; [unrolled: 2-line block ×8, first 2 shown]
	v_add_f64_e32 v[123:124], v[155:156], v[123:124]
	v_add_f64_e32 v[129:130], v[159:160], v[129:130]
	;; [unrolled: 1-line block ×3, first 2 shown]
	v_mul_f64_e32 v[66:67], s[30:31], v[24:25]
	v_mul_f64_e32 v[195:196], s[50:51], v[24:25]
	v_fma_f64 v[211:212], v[20:21], s[38:39], -v[199:200]
	v_fma_f64 v[199:200], v[20:21], s[38:39], v[199:200]
	v_add_f64_e32 v[6:7], v[6:7], v[88:89]
	v_fma_f64 v[213:214], v[20:21], s[12:13], -v[201:202]
	v_add_f64_e32 v[14:15], v[225:226], v[14:15]
	v_add_f64_e32 v[16:17], v[227:228], v[16:17]
	;; [unrolled: 1-line block ×13, first 2 shown]
	v_fma_f64 v[161:162], v[20:21], s[22:23], -v[177:178]
	v_fma_f64 v[177:178], v[20:21], s[22:23], v[177:178]
	v_fma_f64 v[181:182], v[20:21], s[26:27], -v[179:180]
	v_fma_f64 v[179:180], v[20:21], s[26:27], v[179:180]
	;; [unrolled: 2-line block ×4, first 2 shown]
	v_fma_f64 v[201:202], v[20:21], s[12:13], v[201:202]
	v_fma_f64 v[215:216], v[20:21], s[2:3], -v[203:204]
	v_fma_f64 v[203:204], v[20:21], s[2:3], v[203:204]
	v_fma_f64 v[217:218], v[20:21], s[24:25], -v[22:23]
	v_fma_f64 v[20:21], v[20:21], s[24:25], v[22:23]
	v_mul_f64_e32 v[133:134], s[40:41], v[24:25]
	v_mul_f64_e32 v[135:136], s[20:21], v[24:25]
	;; [unrolled: 1-line block ×4, first 2 shown]
	v_add_f64_e32 v[123:124], v[169:170], v[123:124]
	v_add_f64_e32 v[129:130], v[173:174], v[129:130]
	v_mul_f64_e32 v[143:144], s[34:35], v[119:120]
	v_mul_f64_e32 v[127:128], s[42:43], v[119:120]
	v_mul_f64_e32 v[149:150], s[18:19], v[119:120]
	v_fma_f64 v[169:170], v[0:1], s[22:23], v[195:196]
	v_add_f64_e32 v[6:7], v[6:7], v[68:69]
	v_mul_f64_e32 v[153:154], s[48:49], v[119:120]
	v_add_f64_e32 v[14:15], v[147:148], v[14:15]
	v_add_f64_e32 v[16:17], v[187:188], v[16:17]
	;; [unrolled: 1-line block ×14, first 2 shown]
	v_fma_f64 v[165:166], v[0:1], s[24:25], -v[66:67]
	v_fma_f64 v[167:168], v[0:1], s[22:23], -v[195:196]
	;; [unrolled: 1-line block ×3, first 2 shown]
	v_mul_f64_e32 v[157:158], s[16:17], v[119:120]
	v_mul_f64_e32 v[159:160], s[36:37], v[119:120]
	;; [unrolled: 1-line block ×4, first 2 shown]
	v_fma_f64 v[66:67], v[0:1], s[24:25], v[66:67]
	v_fma_f64 v[173:174], v[0:1], s[2:3], v[221:222]
	v_fma_f64 v[175:176], v[0:1], s[26:27], -v[223:224]
	v_fma_f64 v[187:188], v[0:1], s[26:27], v[223:224]
	v_mul_f64_e32 v[151:152], s[36:37], v[131:132]
	v_fma_f64 v[189:190], v[0:1], s[12:13], -v[133:134]
	v_fma_f64 v[133:134], v[0:1], s[12:13], v[133:134]
	v_fma_f64 v[191:192], v[0:1], s[6:7], -v[135:136]
	v_fma_f64 v[135:136], v[0:1], s[6:7], v[135:136]
	;; [unrolled: 2-line block ×4, first 2 shown]
	v_add_f64_e32 v[129:130], v[201:202], v[129:130]
	v_mul_f64_e32 v[155:156], s[46:47], v[131:132]
	v_add_f64_e32 v[6:7], v[6:7], v[74:75]
	v_mul_f64_e32 v[163:164], s[34:35], v[131:132]
	v_add_f64_e32 v[14:15], v[161:162], v[14:15]
	v_add_f64_e32 v[16:17], v[181:182], v[16:17]
	v_add_f64_e32 v[18:19], v[179:180], v[18:19]
	v_add_f64_e32 v[22:23], v[183:184], v[22:23]
	v_add_f64_e32 v[24:25], v[185:186], v[111:112]
	v_add_f64_e32 v[111:112], v[197:198], v[123:124]
	v_add_f64_e32 v[123:124], v[211:212], v[137:138]
	v_add_f64_e32 v[137:138], v[213:214], v[141:142]
	v_add_f64_e32 v[141:142], v[215:216], v[145:146]
	v_add_f64_e32 v[145:146], v[217:218], v[147:148]
	v_add_f64_e32 v[2:3], v[20:21], v[2:3]
	v_add_f64_e32 v[4:5], v[203:204], v[4:5]
	v_add_f64_e32 v[8:9], v[199:200], v[8:9]
	v_add_f64_e32 v[10:11], v[109:110], v[10:11]
	v_add_f64_e32 v[12:13], v[177:178], v[12:13]
	v_fma_f64 v[177:178], v[26:27], s[26:27], -v[143:144]
	v_fma_f64 v[179:180], v[26:27], s[10:11], -v[127:128]
	v_fma_f64 v[127:128], v[26:27], s[10:11], v[127:128]
	v_fma_f64 v[181:182], v[26:27], s[12:13], -v[149:150]
	v_mul_f64_e32 v[20:21], s[44:45], v[131:132]
	v_mul_f64_e32 v[109:110], s[30:31], v[131:132]
	v_fma_f64 v[143:144], v[26:27], s[26:27], v[143:144]
	v_fma_f64 v[149:150], v[26:27], s[12:13], v[149:150]
	v_fma_f64 v[183:184], v[26:27], s[24:25], -v[153:154]
	v_fma_f64 v[153:154], v[26:27], s[24:25], v[153:154]
	v_fma_f64 v[185:186], v[26:27], s[2:3], -v[157:158]
	;; [unrolled: 2-line block ×5, first 2 shown]
	v_fma_f64 v[26:27], v[26:27], s[22:23], v[119:120]
	v_mul_f64_e32 v[147:148], s[42:43], v[131:132]
	v_mul_f64_e32 v[161:162], s[14:15], v[131:132]
	v_add_f64_e32 v[129:130], v[135:136], v[129:130]
	v_add_f64_e32 v[6:7], v[6:7], v[80:81]
	v_mul_f64_e32 v[131:132], s[40:41], v[131:132]
	v_add_f64_e32 v[14:15], v[165:166], v[14:15]
	v_add_f64_e32 v[16:17], v[167:168], v[16:17]
	;; [unrolled: 1-line block ×15, first 2 shown]
	v_fma_f64 v[12:13], v[125:126], s[38:39], -v[151:152]
	v_fma_f64 v[133:134], v[125:126], s[2:3], -v[155:156]
	v_fma_f64 v[139:140], v[125:126], s[2:3], v[155:156]
	v_fma_f64 v[141:142], v[125:126], s[26:27], -v[163:164]
	v_fma_f64 v[66:67], v[125:126], s[38:39], v[151:152]
	v_fma_f64 v[151:152], v[125:126], s[6:7], -v[20:21]
	v_fma_f64 v[155:156], v[125:126], s[24:25], -v[109:110]
	v_fma_f64 v[145:146], v[125:126], s[26:27], v[163:164]
	v_fma_f64 v[20:21], v[125:126], s[6:7], v[20:21]
	;; [unrolled: 1-line block ×3, first 2 shown]
	v_fma_f64 v[163:164], v[125:126], s[10:11], -v[147:148]
	v_fma_f64 v[165:166], v[125:126], s[22:23], -v[161:162]
	v_fma_f64 v[147:148], v[125:126], s[10:11], v[147:148]
	v_add_f64_e32 v[6:7], v[6:7], v[94:95]
	v_fma_f64 v[161:162], v[125:126], s[22:23], v[161:162]
	v_add_f64_e32 v[14:15], v[177:178], v[14:15]
	v_add_f64_e32 v[16:17], v[179:180], v[16:17]
	;; [unrolled: 1-line block ×9, first 2 shown]
	v_fma_f64 v[167:168], v[125:126], s[12:13], -v[131:132]
	v_fma_f64 v[125:126], v[125:126], s[12:13], v[131:132]
	v_add_f64_e32 v[131:132], v[201:202], v[137:138]
	v_add_f64_e32 v[0:1], v[26:27], v[0:1]
	;; [unrolled: 1-line block ×24, first 2 shown]
	s_wait_alu 0xf1ff
	v_cndmask_b32_e64 v10, 0, 0x1210, s1
	v_lshlrev_b32_e32 v11, 3, v108
	ds_load_b64 v[108:109], v114
	global_wb scope:SCOPE_SE
	s_wait_dscnt 0x0
	s_barrier_signal -1
	v_add_nc_u32_e32 v10, 0, v10
	s_barrier_wait -1
	global_inv scope:SCOPE_SE
	v_add3_u32 v110, v10, v11, v117
	s_delay_alu instid0(VALU_DEP_1) | instskip(SKIP_1) | instid1(VALU_DEP_1)
	v_add_nc_u32_e32 v10, 0x800, v110
	v_add_f64_e32 v[6:7], v[6:7], v[104:105]
	v_add_f64_e32 v[6:7], v[6:7], v[106:107]
	ds_store_2addr_b64 v110, v[14:15], v[18:19] offset0:68 offset1:102
	ds_store_2addr_b64 v110, v[22:23], v[24:25] offset0:136 offset1:170
	;; [unrolled: 1-line block ×7, first 2 shown]
	ds_store_b64 v110, v[66:67] offset:4352
	ds_store_2addr_b64 v110, v[6:7], v[12:13] offset1:34
	global_wb scope:SCOPE_SE
	s_wait_dscnt 0x0
	s_barrier_signal -1
	s_barrier_wait -1
	global_inv scope:SCOPE_SE
	ds_load_2addr_b64 v[0:3], v83 offset0:92 offset1:194
	ds_load_2addr_b64 v[4:7], v97 offset0:68 offset1:136
	;; [unrolled: 1-line block ×7, first 2 shown]
	ds_load_b64 v[82:83], v114
	ds_load_b64 v[102:103], v97 offset:8432
	s_and_saveexec_b32 s1, s0
	s_cbranch_execz .LBB0_20
; %bb.19:
	ds_load_b64 v[66:67], v97 offset:4352
	ds_load_b64 v[64:65], v97 offset:8976
.LBB0_20:
	s_wait_alu 0xfffe
	s_or_b32 exec_lo, exec_lo, s1
	v_add_f64_e32 v[111:112], v[108:109], v[46:47]
	v_add_f64_e64 v[61:62], v[61:62], -v[106:107]
	v_add_f64_e64 v[59:60], v[59:60], -v[104:105]
	;; [unrolled: 1-line block ×3, first 2 shown]
	v_add_f64_e32 v[46:47], v[46:47], v[34:35]
	v_add_f64_e64 v[48:49], v[48:49], -v[80:81]
	v_add_f64_e64 v[50:51], v[50:51], -v[68:69]
	;; [unrolled: 1-line block ×5, first 2 shown]
	v_add_f64_e32 v[74:75], v[44:45], v[42:43]
	v_add_f64_e32 v[106:107], v[76:77], v[28:29]
	global_wb scope:SCOPE_SE
	s_wait_dscnt 0x0
	s_barrier_signal -1
	s_barrier_wait -1
	global_inv scope:SCOPE_SE
	v_add_f64_e32 v[111:112], v[111:112], v[86:87]
	v_mul_f64_e32 v[80:81], s[16:17], v[61:62]
	v_mul_f64_e32 v[94:95], s[20:21], v[61:62]
	;; [unrolled: 1-line block ×6, first 2 shown]
	v_add_f64_e32 v[86:87], v[86:87], v[30:31]
	v_mul_f64_e32 v[121:122], s[20:21], v[59:60]
	v_mul_f64_e32 v[123:124], s[18:19], v[59:60]
	;; [unrolled: 1-line block ×28, first 2 shown]
	v_add_f64_e32 v[111:112], v[111:112], v[90:91]
	v_fma_f64 v[165:166], v[46:47], s[2:3], v[80:81]
	v_fma_f64 v[167:168], v[46:47], s[6:7], v[94:95]
	v_fma_f64 v[94:95], v[46:47], s[6:7], -v[94:95]
	v_fma_f64 v[169:170], v[46:47], s[10:11], v[68:69]
	v_fma_f64 v[171:172], v[46:47], s[12:13], v[100:101]
	v_fma_f64 v[100:101], v[46:47], s[12:13], -v[100:101]
	v_fma_f64 v[175:176], v[46:47], s[24:25], v[119:120]
	v_fma_f64 v[119:120], v[46:47], s[24:25], -v[119:120]
	;; [unrolled: 2-line block ×3, first 2 shown]
	v_fma_f64 v[68:69], v[46:47], s[10:11], -v[68:69]
	v_add_f64_e32 v[90:91], v[90:91], v[36:37]
	v_fma_f64 v[187:188], v[86:87], s[6:7], v[121:122]
	v_fma_f64 v[121:122], v[86:87], s[6:7], -v[121:122]
	v_fma_f64 v[189:190], v[86:87], s[12:13], v[123:124]
	v_fma_f64 v[123:124], v[86:87], s[12:13], -v[123:124]
	;; [unrolled: 2-line block ×6, first 2 shown]
	v_add_f64_e32 v[111:112], v[111:112], v[92:93]
	v_add_f64_e32 v[92:93], v[92:93], v[32:33]
	;; [unrolled: 1-line block ×7, first 2 shown]
	v_fma_f64 v[205:206], v[90:91], s[10:11], v[133:134]
	v_fma_f64 v[133:134], v[90:91], s[10:11], -v[133:134]
	v_fma_f64 v[207:208], v[90:91], s[24:25], v[135:136]
	v_fma_f64 v[135:136], v[90:91], s[24:25], -v[135:136]
	;; [unrolled: 2-line block ×8, first 2 shown]
	v_add_f64_e32 v[111:112], v[111:112], v[78:79]
	v_add_f64_e32 v[78:79], v[78:79], v[38:39]
	;; [unrolled: 1-line block ×5, first 2 shown]
	v_mul_f64_e32 v[125:126], s[34:35], v[50:51]
	v_add_f64_e32 v[104:105], v[111:112], v[72:73]
	v_mul_f64_e32 v[111:112], s[14:15], v[61:62]
	v_mul_f64_e32 v[61:62], s[36:37], v[61:62]
	v_add_f64_e32 v[72:73], v[72:73], v[40:41]
	v_add_f64_e32 v[100:101], v[139:140], v[100:101]
	v_add_f64_e32 v[68:69], v[137:138], v[68:69]
	v_mul_f64_e32 v[137:138], s[16:17], v[50:51]
	v_add_f64_e32 v[44:45], v[104:105], v[44:45]
	v_mul_f64_e32 v[104:105], s[50:51], v[59:60]
	v_mul_f64_e32 v[59:60], s[46:47], v[59:60]
	v_fma_f64 v[173:174], v[46:47], s[22:23], v[111:112]
	v_fma_f64 v[179:180], v[46:47], s[38:39], v[61:62]
	v_fma_f64 v[61:62], v[46:47], s[38:39], -v[61:62]
	v_fma_f64 v[111:112], v[46:47], s[22:23], -v[111:112]
	;; [unrolled: 1-line block ×3, first 2 shown]
	v_mul_f64_e32 v[80:81], s[28:29], v[48:49]
	v_add_f64_e32 v[44:45], v[44:45], v[76:77]
	v_fma_f64 v[197:198], v[86:87], s[22:23], v[104:105]
	v_fma_f64 v[104:105], v[86:87], s[22:23], -v[104:105]
	v_fma_f64 v[201:202], v[86:87], s[2:3], v[59:60]
	v_fma_f64 v[59:60], v[86:87], s[2:3], -v[59:60]
	v_add_f64_e32 v[86:87], v[108:109], v[165:166]
	v_add_f64_e32 v[165:166], v[108:109], v[167:168]
	;; [unrolled: 1-line block ×11, first 2 shown]
	v_mul_f64_e32 v[76:77], s[44:45], v[48:49]
	v_mul_f64_e32 v[108:109], s[50:51], v[70:71]
	;; [unrolled: 1-line block ×3, first 2 shown]
	v_add_f64_e32 v[28:29], v[44:45], v[28:29]
	v_mul_f64_e32 v[44:45], s[30:31], v[48:49]
	v_add_f64_e32 v[104:105], v[104:105], v[119:120]
	v_mul_f64_e32 v[48:49], s[30:31], v[70:71]
	v_add_f64_e32 v[86:87], v[187:188], v[86:87]
	v_add_f64_e32 v[90:91], v[189:190], v[165:166]
	;; [unrolled: 1-line block ×12, first 2 shown]
	v_fma_f64 v[129:130], v[92:93], s[12:13], v[147:148]
	v_fma_f64 v[131:132], v[92:93], s[12:13], -v[147:148]
	v_fma_f64 v[147:148], v[92:93], s[38:39], v[149:150]
	v_fma_f64 v[149:150], v[92:93], s[38:39], -v[149:150]
	;; [unrolled: 2-line block ×8, first 2 shown]
	v_add_f64_e32 v[92:93], v[135:136], v[94:95]
	v_mul_f64_e32 v[111:112], s[20:21], v[70:71]
	v_mul_f64_e32 v[121:122], s[36:37], v[70:71]
	v_fma_f64 v[191:192], v[78:79], s[12:13], v[183:184]
	v_fma_f64 v[183:184], v[78:79], s[12:13], -v[183:184]
	v_add_f64_e32 v[28:29], v[28:29], v[42:43]
	v_mul_f64_e32 v[42:43], s[40:41], v[70:71]
	v_add_f64_e32 v[104:105], v[143:144], v[104:105]
	v_mul_f64_e32 v[70:71], s[42:43], v[70:71]
	v_fma_f64 v[143:144], v[78:79], s[22:23], v[161:162]
	v_add_f64_e32 v[86:87], v[205:206], v[86:87]
	v_add_f64_e32 v[90:91], v[207:208], v[90:91]
	;; [unrolled: 1-line block ×12, first 2 shown]
	v_fma_f64 v[145:146], v[78:79], s[22:23], -v[161:162]
	v_fma_f64 v[161:162], v[78:79], s[26:27], v[163:164]
	v_fma_f64 v[163:164], v[78:79], s[26:27], -v[163:164]
	v_fma_f64 v[165:166], v[78:79], s[6:7], v[76:77]
	;; [unrolled: 2-line block ×6, first 2 shown]
	v_fma_f64 v[44:45], v[78:79], s[24:25], -v[44:45]
	v_add_f64_e32 v[100:101], v[153:154], v[100:101]
	v_mul_f64_e32 v[88:89], s[18:19], v[50:51]
	v_mul_f64_e32 v[133:134], s[48:49], v[50:51]
	;; [unrolled: 1-line block ×3, first 2 shown]
	v_fma_f64 v[153:154], v[72:73], s[26:27], v[203:204]
	v_add_f64_e32 v[28:29], v[28:29], v[40:41]
	v_mul_f64_e32 v[40:41], s[42:43], v[50:51]
	v_add_f64_e32 v[104:105], v[157:158], v[104:105]
	v_fma_f64 v[157:158], v[72:73], s[12:13], v[42:43]
	v_fma_f64 v[42:43], v[72:73], s[12:13], -v[42:43]
	v_add_f64_e32 v[78:79], v[129:130], v[86:87]
	v_add_f64_e32 v[86:87], v[147:148], v[90:91]
	;; [unrolled: 1-line block ×14, first 2 shown]
	v_fma_f64 v[139:140], v[72:73], s[24:25], v[48:49]
	v_fma_f64 v[48:49], v[72:73], s[24:25], -v[48:49]
	v_fma_f64 v[147:148], v[72:73], s[22:23], v[108:109]
	v_fma_f64 v[108:109], v[72:73], s[22:23], -v[108:109]
	;; [unrolled: 2-line block ×3, first 2 shown]
	v_fma_f64 v[155:156], v[72:73], s[26:27], -v[203:204]
	v_fma_f64 v[159:160], v[72:73], s[6:7], v[111:112]
	v_fma_f64 v[111:112], v[72:73], s[6:7], -v[111:112]
	v_fma_f64 v[171:172], v[72:73], s[38:39], v[121:122]
	;; [unrolled: 2-line block ×3, first 2 shown]
	v_fma_f64 v[70:71], v[72:73], s[10:11], -v[70:71]
	v_add_f64_e32 v[80:81], v[80:81], v[100:101]
	v_mul_f64_e32 v[68:69], s[36:37], v[84:85]
	v_mul_f64_e32 v[131:132], s[46:47], v[84:85]
	v_mul_f64_e32 v[135:136], s[34:35], v[84:85]
	v_add_f64_e32 v[28:29], v[28:29], v[38:39]
	v_mul_f64_e32 v[38:39], s[44:45], v[50:51]
	v_mul_f64_e32 v[50:51], s[14:15], v[50:51]
	v_add_f64_e32 v[104:105], v[183:184], v[104:105]
	v_add_f64_e32 v[72:73], v[143:144], v[78:79]
	;; [unrolled: 1-line block ×15, first 2 shown]
	v_fma_f64 v[129:130], v[74:75], s[26:27], v[125:126]
	v_fma_f64 v[125:126], v[74:75], s[26:27], -v[125:126]
	v_fma_f64 v[143:144], v[74:75], s[10:11], v[40:41]
	v_fma_f64 v[40:41], v[74:75], s[10:11], -v[40:41]
	;; [unrolled: 2-line block ×6, first 2 shown]
	v_mul_f64_e32 v[61:62], s[30:31], v[84:85]
	v_mul_f64_e32 v[76:77], s[42:43], v[84:85]
	;; [unrolled: 1-line block ×3, first 2 shown]
	v_add_f64_e32 v[80:81], v[155:156], v[80:81]
	v_add_f64_e32 v[28:29], v[28:29], v[32:33]
	v_fma_f64 v[167:168], v[74:75], s[6:7], v[38:39]
	v_fma_f64 v[38:39], v[74:75], s[6:7], -v[38:39]
	v_fma_f64 v[169:170], v[74:75], s[22:23], v[50:51]
	v_fma_f64 v[50:51], v[74:75], s[22:23], -v[50:51]
	v_add_f64_e32 v[72:73], v[139:140], v[72:73]
	v_add_f64_e32 v[74:75], v[147:148], v[78:79]
	;; [unrolled: 1-line block ×4, first 2 shown]
	v_mul_f64_e32 v[32:33], s[44:45], v[84:85]
	v_add_f64_e32 v[90:91], v[153:154], v[92:93]
	v_add_f64_e32 v[92:93], v[157:158], v[94:95]
	;; [unrolled: 1-line block ×5, first 2 shown]
	v_mul_f64_e32 v[84:85], s[40:41], v[84:85]
	v_add_f64_e32 v[108:109], v[173:174], v[123:124]
	v_add_f64_e32 v[44:45], v[70:71], v[44:45]
	v_add_f64_e32 v[52:53], v[121:122], v[52:53]
	v_add_f64_e32 v[42:43], v[42:43], v[54:55]
	v_add_f64_e32 v[54:55], v[151:152], v[59:60]
	v_add_f64_e32 v[46:47], v[48:49], v[46:47]
	v_fma_f64 v[59:60], v[106:107], s[2:3], v[131:132]
	v_fma_f64 v[70:71], v[106:107], s[26:27], v[135:136]
	v_fma_f64 v[48:49], v[106:107], s[38:39], -v[68:69]
	v_fma_f64 v[111:112], v[106:107], s[26:27], -v[135:136]
	v_fma_f64 v[121:122], v[106:107], s[24:25], v[61:62]
	v_fma_f64 v[123:124], v[106:107], s[10:11], v[76:77]
	v_fma_f64 v[76:77], v[106:107], s[10:11], -v[76:77]
	v_fma_f64 v[61:62], v[106:107], s[24:25], -v[61:62]
	v_add_f64_e32 v[80:81], v[133:134], v[80:81]
	v_add_f64_e32 v[28:29], v[28:29], v[36:37]
	v_fma_f64 v[36:37], v[106:107], s[38:39], v[68:69]
	v_fma_f64 v[68:69], v[106:107], s[2:3], -v[131:132]
	v_fma_f64 v[131:132], v[106:107], s[22:23], v[127:128]
	v_fma_f64 v[127:128], v[106:107], s[22:23], -v[127:128]
	v_add_f64_e32 v[72:73], v[129:130], v[72:73]
	v_add_f64_e32 v[74:75], v[143:144], v[74:75]
	;; [unrolled: 1-line block ×4, first 2 shown]
	v_fma_f64 v[119:120], v[106:107], s[6:7], v[32:33]
	v_add_f64_e32 v[86:87], v[161:162], v[90:91]
	v_add_f64_e32 v[90:91], v[163:164], v[92:93]
	;; [unrolled: 1-line block ×5, first 2 shown]
	v_fma_f64 v[135:136], v[106:107], s[12:13], v[84:85]
	v_fma_f64 v[84:85], v[106:107], s[12:13], -v[84:85]
	v_add_f64_e32 v[104:105], v[169:170], v[108:109]
	v_add_f64_e32 v[44:45], v[50:51], v[44:45]
	;; [unrolled: 1-line block ×3, first 2 shown]
	v_fma_f64 v[32:33], v[106:107], s[6:7], -v[32:33]
	v_add_f64_e32 v[42:43], v[137:138], v[42:43]
	v_add_f64_e32 v[50:51], v[88:89], v[54:55]
	;; [unrolled: 1-line block ×8, first 2 shown]
	v_add_nc_u32_e32 v59, 0x1800, v97
	v_add_f64_e32 v[54:55], v[119:120], v[86:87]
	v_add_f64_e32 v[68:69], v[121:122], v[90:91]
	;; [unrolled: 1-line block ×12, first 2 shown]
	v_add_nc_u32_e32 v46, 0x1000, v97
	v_add_nc_u32_e32 v48, 0x400, v97
	;; [unrolled: 1-line block ×3, first 2 shown]
	v_add_f64_e32 v[28:29], v[28:29], v[34:35]
	v_add_nc_u32_e32 v35, 0xc00, v97
	v_add_nc_u32_e32 v34, 0x800, v110
	ds_store_2addr_b64 v110, v[36:37], v[52:53] offset0:68 offset1:102
	ds_store_2addr_b64 v110, v[54:55], v[68:69] offset0:136 offset1:170
	ds_store_2addr_b64 v110, v[70:71], v[74:75] offset0:204 offset1:238
	ds_store_2addr_b64 v34, v[76:77], v[44:45] offset0:16 offset1:50
	ds_store_2addr_b64 v34, v[38:39], v[72:73] offset0:84 offset1:118
	ds_store_2addr_b64 v34, v[42:43], v[32:33] offset0:152 offset1:186
	ds_store_2addr_b64 v34, v[50:51], v[40:41] offset0:220 offset1:254
	ds_store_b64 v110, v[60:61] offset:4352
	ds_store_2addr_b64 v110, v[28:29], v[30:31] offset1:34
	global_wb scope:SCOPE_SE
	s_wait_dscnt 0x0
	s_barrier_signal -1
	s_barrier_wait -1
	global_inv scope:SCOPE_SE
	ds_load_2addr_b64 v[28:31], v35 offset0:92 offset1:194
	ds_load_2addr_b64 v[32:35], v97 offset0:68 offset1:136
	;; [unrolled: 1-line block ×7, first 2 shown]
	ds_load_b64 v[62:63], v114
	ds_load_b64 v[68:69], v97 offset:8432
	s_and_saveexec_b32 s1, s0
	s_cbranch_execz .LBB0_22
; %bb.21:
	ds_load_b64 v[60:61], v97 offset:4352
	ds_load_b64 v[56:57], v97 offset:8976
	v_mov_b32_e32 v58, v118
.LBB0_22:
	s_wait_alu 0xfffe
	s_or_b32 exec_lo, exec_lo, s1
	s_and_saveexec_b32 s1, vcc_lo
	s_cbranch_execz .LBB0_25
; %bb.23:
	v_mov_b32_e32 v97, 0
	s_delay_alu instid0(VALU_DEP_1) | instskip(NEXT) | instid1(VALU_DEP_1)
	v_lshlrev_b64_e32 v[100:101], 4, v[96:97]
	v_add_co_u32 v108, vcc_lo, s4, v100
	s_wait_alu 0xfffd
	s_delay_alu instid0(VALU_DEP_2)
	v_add_co_ci_u32_e32 v109, vcc_lo, s5, v101, vcc_lo
	s_clause 0x7
	global_load_b128 v[70:73], v[108:109], off offset:15504
	global_load_b128 v[74:77], v[108:109], off offset:14416
	global_load_b128 v[78:81], v[108:109], off offset:13328
	global_load_b128 v[84:87], v[108:109], off offset:12240
	global_load_b128 v[88:91], v[108:109], off offset:11152
	global_load_b128 v[92:95], v[108:109], off offset:10064
	global_load_b128 v[104:107], v[108:109], off offset:8976
	global_load_b128 v[108:111], v[108:109], off offset:16592
	s_wait_loadcnt 0x7
	v_mul_f64_e32 v[112:113], v[26:27], v[72:73]
	s_wait_loadcnt 0x6
	v_mul_f64_e32 v[117:118], v[24:25], v[76:77]
	s_wait_loadcnt 0x5
	v_mul_f64_e32 v[119:120], v[22:23], v[80:81]
	s_wait_loadcnt 0x4
	v_mul_f64_e32 v[121:122], v[20:21], v[86:87]
	s_wait_loadcnt 0x3
	v_mul_f64_e32 v[123:124], v[18:19], v[90:91]
	s_wait_loadcnt 0x2
	v_mul_f64_e32 v[125:126], v[16:17], v[94:95]
	s_wait_loadcnt 0x1
	v_mul_f64_e32 v[127:128], v[2:3], v[106:107]
	s_wait_dscnt 0x8
	v_mul_f64_e32 v[106:107], v[30:31], v[106:107]
	s_wait_dscnt 0x6
	v_mul_f64_e32 v[94:95], v[44:45], v[94:95]
	v_mul_f64_e32 v[90:91], v[46:47], v[90:91]
	s_wait_dscnt 0x4
	v_mul_f64_e32 v[86:87], v[48:49], v[86:87]
	v_mul_f64_e32 v[80:81], v[50:51], v[80:81]
	s_wait_dscnt 0x2
	v_mul_f64_e32 v[76:77], v[52:53], v[76:77]
	v_mul_f64_e32 v[72:73], v[54:55], v[72:73]
	s_wait_loadcnt 0x0
	v_mul_f64_e32 v[129:130], v[102:103], v[110:111]
	s_wait_dscnt 0x0
	v_mul_f64_e32 v[110:111], v[68:69], v[110:111]
	v_fma_f64 v[54:55], v[54:55], v[70:71], v[112:113]
	v_fma_f64 v[52:53], v[52:53], v[74:75], v[117:118]
	;; [unrolled: 1-line block ×7, first 2 shown]
	v_fma_f64 v[2:3], v[2:3], v[104:105], -v[106:107]
	v_fma_f64 v[16:17], v[16:17], v[92:93], -v[94:95]
	;; [unrolled: 1-line block ×7, first 2 shown]
	v_fma_f64 v[76:77], v[68:69], v[108:109], v[129:130]
	v_fma_f64 v[80:81], v[102:103], v[108:109], -v[110:111]
	v_add_f64_e64 v[18:19], v[42:43], -v[54:55]
	v_add_f64_e64 v[22:23], v[40:41], -v[52:53]
	;; [unrolled: 1-line block ×16, first 2 shown]
	v_mul_hi_u32 v2, 0xe2c4a689, v116
	v_mul_hi_u32 v30, 0xe2c4a689, v115
	s_delay_alu instid0(VALU_DEP_2) | instskip(NEXT) | instid1(VALU_DEP_1)
	v_lshrrev_b32_e32 v31, 9, v2
	v_mul_u32_u24_e32 v96, 0x242, v31
	v_fma_f64 v[42:43], v[42:43], 2.0, -v[18:19]
	v_fma_f64 v[78:79], v[40:41], 2.0, -v[22:23]
	;; [unrolled: 1-line block ×16, first 2 shown]
	v_lshrrev_b32_e32 v0, 9, v30
	v_add_co_u32 v1, vcc_lo, s8, v98
	s_wait_alu 0xfffd
	v_add_co_ci_u32_e32 v8, vcc_lo, s9, v99, vcc_lo
	v_lshlrev_b64_e32 v[6:7], 4, v[96:97]
	v_mul_u32_u24_e32 v96, 0x242, v0
	v_add_co_u32 v0, vcc_lo, v1, v100
	s_wait_alu 0xfffd
	v_add_co_ci_u32_e32 v1, vcc_lo, v8, v101, vcc_lo
	s_delay_alu instid0(VALU_DEP_3) | instskip(NEXT) | instid1(VALU_DEP_3)
	v_lshlrev_b64_e32 v[8:9], 4, v[96:97]
	v_add_co_u32 v6, vcc_lo, v0, v6
	s_wait_alu 0xfffd
	s_delay_alu instid0(VALU_DEP_3) | instskip(NEXT) | instid1(VALU_DEP_3)
	v_add_co_ci_u32_e32 v7, vcc_lo, v1, v7, vcc_lo
	v_add_co_u32 v8, vcc_lo, v0, v8
	s_wait_alu 0xfffd
	v_add_co_ci_u32_e32 v9, vcc_lo, v1, v9, vcc_lo
	s_clause 0xf
	global_store_b128 v[0:1], v[68:71], off offset:9248
	global_store_b128 v[0:1], v[52:55], off offset:10336
	;; [unrolled: 1-line block ×6, first 2 shown]
	global_store_b128 v[0:1], v[90:93], off
	global_store_b128 v[0:1], v[86:89], off offset:1088
	global_store_b128 v[0:1], v[32:35], off offset:2176
	global_store_b128 v[0:1], v[82:85], off offset:3264
	global_store_b128 v[0:1], v[36:39], off offset:4352
	global_store_b128 v[0:1], v[76:79], off offset:5440
	global_store_b128 v[6:7], v[40:43], off offset:6528
	global_store_b128 v[6:7], v[16:19], off offset:15776
	global_store_b128 v[8:9], v[2:5], off offset:7616
	global_store_b128 v[8:9], v[72:75], off offset:16864
	s_and_b32 exec_lo, exec_lo, s0
	s_cbranch_execz .LBB0_25
; %bb.24:
	v_mov_b32_e32 v59, v97
	s_delay_alu instid0(VALU_DEP_1) | instskip(NEXT) | instid1(VALU_DEP_1)
	v_lshlrev_b64_e32 v[2:3], 4, v[58:59]
	v_add_co_u32 v2, vcc_lo, s4, v2
	s_wait_alu 0xfffd
	s_delay_alu instid0(VALU_DEP_2) | instskip(SKIP_4) | instid1(VALU_DEP_2)
	v_add_co_ci_u32_e32 v3, vcc_lo, s5, v3, vcc_lo
	global_load_b128 v[2:5], v[2:3], off offset:8976
	s_wait_loadcnt 0x0
	v_mul_f64_e32 v[6:7], v[56:57], v[4:5]
	v_mul_f64_e32 v[4:5], v[64:65], v[4:5]
	v_fma_f64 v[6:7], v[64:65], v[2:3], -v[6:7]
	s_delay_alu instid0(VALU_DEP_2) | instskip(NEXT) | instid1(VALU_DEP_2)
	v_fma_f64 v[4:5], v[56:57], v[2:3], v[4:5]
	v_add_f64_e64 v[2:3], v[66:67], -v[6:7]
	s_delay_alu instid0(VALU_DEP_2) | instskip(NEXT) | instid1(VALU_DEP_2)
	v_add_f64_e64 v[4:5], v[60:61], -v[4:5]
	v_fma_f64 v[6:7], v[66:67], 2.0, -v[2:3]
	s_delay_alu instid0(VALU_DEP_2)
	v_fma_f64 v[8:9], v[60:61], 2.0, -v[4:5]
	s_clause 0x1
	global_store_b128 v[0:1], v[6:9], off offset:8704
	global_store_b128 v[0:1], v[2:5], off offset:17952
.LBB0_25:
	s_nop 0
	s_sendmsg sendmsg(MSG_DEALLOC_VGPRS)
	s_endpgm
	.section	.rodata,"a",@progbits
	.p2align	6, 0x0
	.amdhsa_kernel fft_rtc_fwd_len1156_factors_17_2_17_2_wgs_204_tpt_68_halfLds_dp_ip_CI_unitstride_sbrr_dirReg
		.amdhsa_group_segment_fixed_size 0
		.amdhsa_private_segment_fixed_size 0
		.amdhsa_kernarg_size 88
		.amdhsa_user_sgpr_count 2
		.amdhsa_user_sgpr_dispatch_ptr 0
		.amdhsa_user_sgpr_queue_ptr 0
		.amdhsa_user_sgpr_kernarg_segment_ptr 1
		.amdhsa_user_sgpr_dispatch_id 0
		.amdhsa_user_sgpr_private_segment_size 0
		.amdhsa_wavefront_size32 1
		.amdhsa_uses_dynamic_stack 0
		.amdhsa_enable_private_segment 0
		.amdhsa_system_sgpr_workgroup_id_x 1
		.amdhsa_system_sgpr_workgroup_id_y 0
		.amdhsa_system_sgpr_workgroup_id_z 0
		.amdhsa_system_sgpr_workgroup_info 0
		.amdhsa_system_vgpr_workitem_id 0
		.amdhsa_next_free_vgpr 241
		.amdhsa_next_free_sgpr 56
		.amdhsa_reserve_vcc 1
		.amdhsa_float_round_mode_32 0
		.amdhsa_float_round_mode_16_64 0
		.amdhsa_float_denorm_mode_32 3
		.amdhsa_float_denorm_mode_16_64 3
		.amdhsa_fp16_overflow 0
		.amdhsa_workgroup_processor_mode 1
		.amdhsa_memory_ordered 1
		.amdhsa_forward_progress 0
		.amdhsa_round_robin_scheduling 0
		.amdhsa_exception_fp_ieee_invalid_op 0
		.amdhsa_exception_fp_denorm_src 0
		.amdhsa_exception_fp_ieee_div_zero 0
		.amdhsa_exception_fp_ieee_overflow 0
		.amdhsa_exception_fp_ieee_underflow 0
		.amdhsa_exception_fp_ieee_inexact 0
		.amdhsa_exception_int_div_zero 0
	.end_amdhsa_kernel
	.text
.Lfunc_end0:
	.size	fft_rtc_fwd_len1156_factors_17_2_17_2_wgs_204_tpt_68_halfLds_dp_ip_CI_unitstride_sbrr_dirReg, .Lfunc_end0-fft_rtc_fwd_len1156_factors_17_2_17_2_wgs_204_tpt_68_halfLds_dp_ip_CI_unitstride_sbrr_dirReg
                                        ; -- End function
	.section	.AMDGPU.csdata,"",@progbits
; Kernel info:
; codeLenInByte = 15064
; NumSgprs: 58
; NumVgprs: 241
; ScratchSize: 0
; MemoryBound: 1
; FloatMode: 240
; IeeeMode: 1
; LDSByteSize: 0 bytes/workgroup (compile time only)
; SGPRBlocks: 7
; VGPRBlocks: 30
; NumSGPRsForWavesPerEU: 58
; NumVGPRsForWavesPerEU: 241
; Occupancy: 5
; WaveLimiterHint : 1
; COMPUTE_PGM_RSRC2:SCRATCH_EN: 0
; COMPUTE_PGM_RSRC2:USER_SGPR: 2
; COMPUTE_PGM_RSRC2:TRAP_HANDLER: 0
; COMPUTE_PGM_RSRC2:TGID_X_EN: 1
; COMPUTE_PGM_RSRC2:TGID_Y_EN: 0
; COMPUTE_PGM_RSRC2:TGID_Z_EN: 0
; COMPUTE_PGM_RSRC2:TIDIG_COMP_CNT: 0
	.text
	.p2alignl 7, 3214868480
	.fill 96, 4, 3214868480
	.type	__hip_cuid_3f0eaba2e2a3a14a,@object ; @__hip_cuid_3f0eaba2e2a3a14a
	.section	.bss,"aw",@nobits
	.globl	__hip_cuid_3f0eaba2e2a3a14a
__hip_cuid_3f0eaba2e2a3a14a:
	.byte	0                               ; 0x0
	.size	__hip_cuid_3f0eaba2e2a3a14a, 1

	.ident	"AMD clang version 19.0.0git (https://github.com/RadeonOpenCompute/llvm-project roc-6.4.0 25133 c7fe45cf4b819c5991fe208aaa96edf142730f1d)"
	.section	".note.GNU-stack","",@progbits
	.addrsig
	.addrsig_sym __hip_cuid_3f0eaba2e2a3a14a
	.amdgpu_metadata
---
amdhsa.kernels:
  - .args:
      - .actual_access:  read_only
        .address_space:  global
        .offset:         0
        .size:           8
        .value_kind:     global_buffer
      - .offset:         8
        .size:           8
        .value_kind:     by_value
      - .actual_access:  read_only
        .address_space:  global
        .offset:         16
        .size:           8
        .value_kind:     global_buffer
      - .actual_access:  read_only
        .address_space:  global
        .offset:         24
        .size:           8
        .value_kind:     global_buffer
      - .offset:         32
        .size:           8
        .value_kind:     by_value
      - .actual_access:  read_only
        .address_space:  global
        .offset:         40
        .size:           8
        .value_kind:     global_buffer
      - .actual_access:  read_only
        .address_space:  global
        .offset:         48
        .size:           8
        .value_kind:     global_buffer
      - .offset:         56
        .size:           4
        .value_kind:     by_value
      - .actual_access:  read_only
        .address_space:  global
        .offset:         64
        .size:           8
        .value_kind:     global_buffer
      - .actual_access:  read_only
        .address_space:  global
        .offset:         72
        .size:           8
        .value_kind:     global_buffer
      - .address_space:  global
        .offset:         80
        .size:           8
        .value_kind:     global_buffer
    .group_segment_fixed_size: 0
    .kernarg_segment_align: 8
    .kernarg_segment_size: 88
    .language:       OpenCL C
    .language_version:
      - 2
      - 0
    .max_flat_workgroup_size: 204
    .name:           fft_rtc_fwd_len1156_factors_17_2_17_2_wgs_204_tpt_68_halfLds_dp_ip_CI_unitstride_sbrr_dirReg
    .private_segment_fixed_size: 0
    .sgpr_count:     58
    .sgpr_spill_count: 0
    .symbol:         fft_rtc_fwd_len1156_factors_17_2_17_2_wgs_204_tpt_68_halfLds_dp_ip_CI_unitstride_sbrr_dirReg.kd
    .uniform_work_group_size: 1
    .uses_dynamic_stack: false
    .vgpr_count:     241
    .vgpr_spill_count: 0
    .wavefront_size: 32
    .workgroup_processor_mode: 1
amdhsa.target:   amdgcn-amd-amdhsa--gfx1201
amdhsa.version:
  - 1
  - 2
...

	.end_amdgpu_metadata
